;; amdgpu-corpus repo=zjin-lcf/HeCBench kind=compiled arch=gfx1100 opt=O3
	.text
	.amdgcn_target "amdgcn-amd-amdhsa--gfx1100"
	.amdhsa_code_object_version 6
	.protected	_Z6lookupPKiPKdS0_PiS0_S2_PK6WindowPK4Poleiiiiii ; -- Begin function _Z6lookupPKiPKdS0_PiS0_S2_PK6WindowPK4Poleiiiiii
	.globl	_Z6lookupPKiPKdS0_PiS0_S2_PK6WindowPK4Poleiiiiii
	.p2align	8
	.type	_Z6lookupPKiPKdS0_PiS0_S2_PK6WindowPK4Poleiiiiii,@function
_Z6lookupPKiPKdS0_PiS0_S2_PK6WindowPK4Poleiiiiii: ; @_Z6lookupPKiPKdS0_PiS0_S2_PK6WindowPK4Poleiiiiii
; %bb.0:
	s_clause 0x1
	s_load_b32 s4, s[2:3], 0x64
	s_load_b128 s[8:11], s[2:3], 0x40
	v_and_b32_e32 v1, 0x3ff, v0
	s_waitcnt lgkmcnt(0)
	s_and_b32 s4, s4, 0xffff
	s_ashr_i32 s5, s8, 31
	s_delay_alu instid0(VALU_DEP_1)
	v_mad_u64_u32 v[16:17], null, s15, s4, v[1:2]
	v_mov_b32_e32 v17, 0
	s_mov_b32 s4, s8
	s_delay_alu instid0(VALU_DEP_1) | instid1(SALU_CYCLE_1)
	v_cmp_gt_u64_e32 vcc_lo, s[4:5], v[16:17]
	s_and_saveexec_b32 s4, vcc_lo
	s_cbranch_execz .LBB0_104
; %bb.1:
                                        ; implicit-def: $vgpr106 : SGPR spill to VGPR lane
	s_clause 0x1
	s_load_b256 s[24:31], s[2:3], 0x0
	s_load_b128 s[4:7], s[2:3], 0x20
	v_writelane_b32 v106, s8, 0
	s_mov_b32 s12, 0x4a2bcaa7
	s_mov_b32 s13, 0xc5df23cb
	s_delay_alu instid0(SALU_CYCLE_1)
	v_dual_mov_b32 v2, s12 :: v_dual_mov_b32 v3, s13
	v_writelane_b32 v106, s9, 1
	s_mov_b32 s15, 0
	s_mov_b32 s14, exec_lo
	v_writelane_b32 v106, s10, 2
	v_writelane_b32 v106, s11, 3
	s_waitcnt lgkmcnt(0)
	v_writelane_b32 v106, s4, 4
	v_writelane_b32 v106, s5, 5
	;; [unrolled: 1-line block ×4, first 2 shown]
	s_load_b64 s[4:5], s[2:3], 0x30
	s_waitcnt lgkmcnt(0)
	v_writelane_b32 v106, s4, 8
	v_writelane_b32 v106, s5, 9
	s_load_b64 s[4:5], s[2:3], 0x50
	s_waitcnt lgkmcnt(0)
	v_writelane_b32 v106, s4, 10
	v_writelane_b32 v106, s5, 11
	v_cmpx_ne_u32_e32 0, v16
	s_cbranch_execz .LBB0_7
; %bb.2:
	v_mov_b32_e32 v4, 0
	v_lshlrev_b64 v[2:3], 1, v[16:17]
	v_dual_mov_b32 v5, 0 :: v_dual_mov_b32 v6, 1
	v_mov_b32_e32 v7, 0
	s_mov_b64 s[12:13], 1
	s_mov_b32 s17, 0x26f19d38
	s_mov_b32 s16, 0xe48e2825
	s_set_inst_prefetch_distance 0x1
	s_branch .LBB0_4
	.p2align	6
.LBB0_3:                                ;   in Loop: Header=BB0_4 Depth=1
	s_or_b32 exec_lo, exec_lo, s18
	s_add_u32 s4, s16, 1
	s_addc_u32 s5, s17, 0
	s_mul_i32 s6, s4, s13
	s_mul_hi_u32 s7, s4, s12
	v_lshrrev_b64 v[8:9], 1, v[2:3]
	s_mul_i32 s5, s5, s12
	s_add_i32 s6, s7, s6
	v_cmp_gt_u64_e32 vcc_lo, 2, v[2:3]
	s_add_i32 s13, s6, s5
	s_mul_i32 s5, s16, s17
	s_mul_hi_u32 s6, s16, s16
	s_mul_i32 s12, s4, s12
	s_add_i32 s4, s6, s5
	v_dual_mov_b32 v2, v8 :: v_dual_mov_b32 v3, v9
	s_add_i32 s17, s4, s5
	s_or_b32 s15, vcc_lo, s15
	s_mul_i32 s16, s16, s16
	s_and_not1_b32 exec_lo, exec_lo, s15
	s_cbranch_execz .LBB0_6
.LBB0_4:                                ; =>This Inner Loop Header: Depth=1
	v_and_b32_e32 v8, 1, v2
	s_mov_b32 s18, exec_lo
	s_delay_alu instid0(VALU_DEP_1)
	v_cmpx_eq_u32_e32 1, v8
	s_cbranch_execz .LBB0_3
; %bb.5:                                ;   in Loop: Header=BB0_4 Depth=1
	v_mul_lo_u32 v11, s17, v6
	v_mul_lo_u32 v12, s16, v7
	v_mad_u64_u32 v[7:8], null, s16, v6, 0
	v_mad_u64_u32 v[9:10], null, s16, v4, s[12:13]
	v_mul_lo_u32 v5, s16, v5
	v_mul_lo_u32 v4, s17, v4
	s_delay_alu instid0(VALU_DEP_4) | instskip(NEXT) | instid1(VALU_DEP_2)
	v_add3_u32 v8, v8, v12, v11
	v_add3_u32 v10, v4, v10, v5
	v_mov_b32_e32 v6, v7
	s_delay_alu instid0(VALU_DEP_2) | instskip(NEXT) | instid1(VALU_DEP_4)
	v_dual_mov_b32 v4, v9 :: v_dual_mov_b32 v5, v10
	v_mov_b32_e32 v7, v8
	s_branch .LBB0_3
.LBB0_6:
	s_set_inst_prefetch_distance 0x2
	s_or_b32 exec_lo, exec_lo, s15
	v_mad_u64_u32 v[8:9], null, 0x42e, v6, v[4:5]
	s_delay_alu instid0(VALU_DEP_1) | instskip(NEXT) | instid1(VALU_DEP_1)
	v_mov_b32_e32 v2, v9
	v_mad_u64_u32 v[3:4], null, 0x42e, v7, v[2:3]
	s_delay_alu instid0(VALU_DEP_3) | instskip(NEXT) | instid1(VALU_DEP_2)
	v_mul_lo_u32 v4, 0x26f19d38, v8
	v_mul_lo_u32 v5, 0xe48e2825, v3
	v_mad_u64_u32 v[2:3], null, 0xe48e2825, v8, 1
	s_delay_alu instid0(VALU_DEP_1)
	v_add3_u32 v3, v5, v3, v4
.LBB0_7:
	s_or_b32 exec_lo, exec_lo, s14
	s_delay_alu instid0(VALU_DEP_2) | instskip(SKIP_1) | instid1(VALU_DEP_3)
	v_mad_u64_u32 v[4:5], null, 0xe48e2825, v2, 1
	v_mul_lo_u32 v6, 0x26f19d38, v2
	v_mul_lo_u32 v7, 0xe48e2825, v3
	s_mov_b32 s12, 0x76c8b439
	s_mov_b32 s13, 0x3faa9fbe
	s_load_b64 s[2:3], s[2:3], 0x38
	s_delay_alu instid0(VALU_DEP_1) | instskip(NEXT) | instid1(VALU_DEP_4)
	v_add3_u32 v5, v7, v5, v6
	v_cvt_f64_u32_e32 v[7:8], v4
	s_delay_alu instid0(VALU_DEP_2) | instskip(NEXT) | instid1(VALU_DEP_1)
	v_and_b32_e32 v5, 0x7fffffff, v5
	v_cvt_f64_u32_e32 v[5:6], v5
	s_waitcnt lgkmcnt(0)
	v_writelane_b32 v106, s2, 12
	v_writelane_b32 v106, s3, 13
	s_delay_alu instid0(VALU_DEP_3) | instskip(NEXT) | instid1(VALU_DEP_1)
	v_ldexp_f64 v[5:6], v[5:6], 32
	v_add_f64 v[4:5], v[5:6], v[7:8]
	v_mov_b32_e32 v6, 1
	s_delay_alu instid0(VALU_DEP_2) | instskip(NEXT) | instid1(VALU_DEP_1)
	v_ldexp_f64 v[4:5], v[4:5], 0xffffffc1
	v_cmp_ngt_f64_e32 vcc_lo, s[12:13], v[4:5]
	s_and_saveexec_b32 s12, vcc_lo
	s_cbranch_execz .LBB0_29
; %bb.8:
	v_mov_b32_e32 v6, 2
	s_mov_b32 s14, 0x6872b021
	s_mov_b32 s15, 0x3fd4ed91
	s_mov_b32 s13, exec_lo
	v_cmpx_ngt_f64_e32 s[14:15], v[4:5]
	s_cbranch_execz .LBB0_28
; %bb.9:
	s_mov_b32 s14, 0x24dd2f1b
	s_mov_b32 s15, 0x3fdd8106
	v_mov_b32_e32 v6, 3
	v_cmp_ngt_f64_e32 vcc_lo, s[14:15], v[4:5]
	s_and_saveexec_b32 s14, vcc_lo
	s_cbranch_execz .LBB0_27
; %bb.10:
	v_mov_b32_e32 v6, 4
	s_mov_b32 s16, 0x7ae147af
	s_mov_b32 s17, 0x3fe3ae14
	s_mov_b32 s15, exec_lo
	v_cmpx_ngt_f64_e32 s[16:17], v[4:5]
	s_cbranch_execz .LBB0_26
; %bb.11:
	s_mov_b32 s16, 0x353f7cee
	s_mov_b32 s17, 0x3fe5ba5e
	v_mov_b32_e32 v6, 5
	;; [unrolled: 14-line block ×5, first 2 shown]
	v_cmp_ngt_f64_e32 vcc_lo, s[22:23], v[4:5]
	s_and_saveexec_b32 s22, vcc_lo
; %bb.18:
	v_mov_b32_e32 v6, 0
; %bb.19:
	s_or_b32 exec_lo, exec_lo, s22
.LBB0_20:
	s_delay_alu instid0(SALU_CYCLE_1)
	s_or_b32 exec_lo, exec_lo, s21
.LBB0_21:
	s_delay_alu instid0(SALU_CYCLE_1)
	s_or_b32 exec_lo, exec_lo, s20
.LBB0_22:
	s_delay_alu instid0(SALU_CYCLE_1)
	s_or_b32 exec_lo, exec_lo, s19
.LBB0_23:
	s_delay_alu instid0(SALU_CYCLE_1)
	s_or_b32 exec_lo, exec_lo, s18
.LBB0_24:
	s_delay_alu instid0(SALU_CYCLE_1)
	s_or_b32 exec_lo, exec_lo, s17
.LBB0_25:
	s_delay_alu instid0(SALU_CYCLE_1)
	s_or_b32 exec_lo, exec_lo, s16
.LBB0_26:
	s_delay_alu instid0(SALU_CYCLE_1)
	s_or_b32 exec_lo, exec_lo, s15
.LBB0_27:
	s_delay_alu instid0(SALU_CYCLE_1)
	s_or_b32 exec_lo, exec_lo, s14
.LBB0_28:
	s_delay_alu instid0(SALU_CYCLE_1)
	s_or_b32 exec_lo, exec_lo, s13
.LBB0_29:
	s_delay_alu instid0(SALU_CYCLE_1)
	s_or_b32 exec_lo, exec_lo, s12
	v_lshlrev_b32_e32 v4, 2, v6
	v_mov_b32_e32 v20, 0
	v_mov_b32_e32 v21, 0
	s_mov_b32 s102, 0
	s_mov_b32 s103, exec_lo
	global_load_b32 v82, v4, s[24:25]
	v_dual_mov_b32 v23, v21 :: v_dual_mov_b32 v22, v20
	v_dual_mov_b32 v25, v21 :: v_dual_mov_b32 v24, v20
	;; [unrolled: 1-line block ×3, first 2 shown]
	s_waitcnt vmcnt(0)
	v_cmpx_lt_i32_e32 0, v82
	s_cbranch_execz .LBB0_103
; %bb.30:
	v_dual_mov_b32 v20, 0 :: v_dual_and_b32 v3, 0x7fffffff, v3
	v_cvt_f64_u32_e32 v[7:8], v2
	s_load_b64 s[0:1], s[0:1], 0x4
	v_readlane_b32 s2, v106, 10
	s_delay_alu instid0(VALU_DEP_3)
	v_cvt_f64_u32_e32 v[3:4], v3
	v_readlane_b32 s3, v106, 11
	s_mov_b64 s[12:13], s[28:29]
	s_mov_b64 s[14:15], s[30:31]
	v_readlane_b32 s28, v106, 0
	v_readlane_b32 s29, v106, 1
	v_mul_lo_u32 v83, v6, s3
	v_readlane_b32 s30, v106, 2
	v_readlane_b32 s31, v106, 3
	s_mov_b64 s[10:11], s[26:27]
	v_bfe_u32 v11, v0, 10, 10
	v_bfe_u32 v0, v0, 20, 10
	v_or_b32_e64 v84, 0, 8
	s_mov_b32 s4, 0xbd3237f4
	s_mov_b32 s24, 0xb5e68a13
	;; [unrolled: 1-line block ×5, first 2 shown]
	s_waitcnt lgkmcnt(0)
	s_lshr_b32 s0, s0, 16
	s_cmp_lg_u32 s29, 1
	s_mul_i32 s0, s0, s1
	s_mov_b32 s34, 0xa57d9582
	v_mul_lo_u32 v1, s0, v1
	s_cselect_b32 s0, -1, 0
	s_mov_b32 s36, 0x5f08b19f
	v_writelane_b32 v106, s0, 14
	s_mov_b32 s38, 0xfc27006a
	s_mov_b32 s40, 0x5711927a
	;; [unrolled: 1-line block ×4, first 2 shown]
	v_writelane_b32 v106, s8, 15
	v_mad_u32_u24 v1, v11, s1, v1
	s_mov_b32 s46, 0x6a214619
	s_mov_b32 s48, 0x8427b883
	s_mov_b32 s50, 0x8b207f05
	v_writelane_b32 v106, s9, 16
	v_add_lshl_u32 v85, v1, v0, 6
	s_mov_b32 s52, 0x57b87036
	v_ldexp_f64 v[2:3], v[3:4], 32
	s_mov_b32 s54, 0x19378e4f
	v_writelane_b32 v106, s10, 17
	s_mov_b32 s56, 0x17e1913c
	s_mov_b32 s58, 0x92376b7d
	s_mov_b32 s60, 0x999952cc
	s_mov_b32 s62, 0x55555523
	v_writelane_b32 v106, s11, 18
	s_mov_b32 s64, 0xeeb562d6
	s_mov_b32 s66, 0x336a0500
	s_mov_b32 s68, 0x54442d18
	s_mov_b32 s6, 0x33145c07
	v_writelane_b32 v106, s12, 19
	s_mov_b32 s72, 0x6dc9c883
	s_mov_b32 s74, 0x33145c00
	s_mov_b32 s76, 0x252049c0
	s_mov_b32 s78, 0x9037ab78
	v_writelane_b32 v106, s13, 20
	s_mov_b32 s80, 0x46cc5e42
	s_mov_b32 s82, 0xa17f65f6
	s_mov_b32 s84, 0x19f4ec90
	s_mov_b32 s86, 0x16c16967
	v_writelane_b32 v106, s14, 21
	s_mov_b32 s88, 0x55555555
	s_mov_b32 s90, 0xb42fdfa7
	s_mov_b32 s92, 0xf9a43bb8
	s_mov_b32 s94, 0x796cde01
	s_mov_b32 s96, 0x19e83e5c
	;; [unrolled: 1-line block ×12, first 2 shown]
	v_add_f64 v[2:3], v[2:3], v[7:8]
	s_mov_b32 s39, 0xbf9e9ae6
	s_mov_b32 s41, 0x3fa2c15b
	;; [unrolled: 1-line block ×36, first 2 shown]
	v_writelane_b32 v106, s15, 22
	v_ldexp_f64 v[18:19], v[2:3], 0xffffffc1
	v_dual_mov_b32 v21, 0 :: v_dual_mov_b32 v30, 0
	s_delay_alu instid0(VALU_DEP_1)
	v_mov_b32_e32 v23, v21
	v_dual_mov_b32 v25, v21 :: v_dual_mov_b32 v24, v20
	v_dual_mov_b32 v29, v21 :: v_dual_mov_b32 v28, v20
	v_cmp_gt_f64_e32 vcc_lo, 0x10000000, v[18:19]
	v_mul_f64 v[26:27], v[18:19], v[18:19]
	v_cndmask_b32_e64 v2, 0, 1, vcc_lo
	v_cndmask_b32_e64 v6, 0, 0xffffff80, vcc_lo
	s_delay_alu instid0(VALU_DEP_2) | instskip(NEXT) | instid1(VALU_DEP_1)
	v_lshlrev_b32_e32 v2, 8, v2
	v_ldexp_f64 v[2:3], v[18:19], v2
	s_delay_alu instid0(VALU_DEP_1) | instskip(SKIP_4) | instid1(VALU_DEP_1)
	v_rsq_f64_e32 v[4:5], v[2:3]
	v_cmp_class_f64_e64 vcc_lo, v[2:3], 0x260
	s_waitcnt_depctr 0xfff
	v_mul_f64 v[7:8], v[2:3], v[4:5]
	v_mul_f64 v[4:5], v[4:5], 0.5
	v_fma_f64 v[9:10], -v[4:5], v[7:8], 0.5
	s_delay_alu instid0(VALU_DEP_1) | instskip(SKIP_1) | instid1(VALU_DEP_2)
	v_fma_f64 v[7:8], v[7:8], v[9:10], v[7:8]
	v_fma_f64 v[4:5], v[4:5], v[9:10], v[4:5]
	v_fma_f64 v[9:10], -v[7:8], v[7:8], v[2:3]
	s_delay_alu instid0(VALU_DEP_1) | instskip(NEXT) | instid1(VALU_DEP_1)
	v_fma_f64 v[7:8], v[9:10], v[4:5], v[7:8]
	v_fma_f64 v[9:10], -v[7:8], v[7:8], v[2:3]
	s_delay_alu instid0(VALU_DEP_1) | instskip(NEXT) | instid1(VALU_DEP_1)
	v_fma_f64 v[4:5], v[9:10], v[4:5], v[7:8]
	v_ldexp_f64 v[4:5], v[4:5], v6
	s_delay_alu instid0(VALU_DEP_1) | instskip(NEXT) | instid1(VALU_DEP_2)
	v_dual_mov_b32 v22, v20 :: v_dual_cndmask_b32 v33, v5, v3
	v_cndmask_b32_e32 v32, v4, v2, vcc_lo
	s_branch .LBB0_34
.LBB0_31:                               ;   in Loop: Header=BB0_34 Depth=1
	s_or_b32 exec_lo, exec_lo, s14
.LBB0_32:                               ;   in Loop: Header=BB0_34 Depth=1
	s_delay_alu instid0(SALU_CYCLE_1) | instskip(NEXT) | instid1(VALU_DEP_1)
	s_or_b32 exec_lo, exec_lo, vcc_hi
	v_add_f64 v[2:3], v[36:37], -v[38:39]
.LBB0_33:                               ;   in Loop: Header=BB0_34 Depth=1
	v_lshlrev_b64 v[4:5], 3, v[34:35]
	v_readlane_b32 s8, v106, 15
	v_readlane_b32 s10, v106, 17
	v_readlane_b32 s11, v106, 18
	s_add_i32 s104, s104, 1
	v_readlane_b32 s12, v106, 19
	v_readlane_b32 s13, v106, 20
	v_add_co_u32 v4, vcc_lo, s10, v4
	v_add_co_ci_u32_e32 v5, vcc_lo, s11, v5, vcc_lo
	v_cmp_eq_u32_e32 vcc_lo, s104, v82
	v_readlane_b32 s14, v106, 21
	v_readlane_b32 s15, v106, 22
	global_load_b64 v[4:5], v[4:5], off
	v_readlane_b32 s9, v106, 16
	s_or_b32 s102, vcc_lo, s102
	s_waitcnt vmcnt(0)
	v_fma_f64 v[28:29], v[36:37], v[4:5], v[28:29]
	v_fma_f64 v[24:25], v[38:39], v[4:5], v[24:25]
	;; [unrolled: 1-line block ×4, first 2 shown]
	s_and_not1_b32 exec_lo, exec_lo, s102
	s_cbranch_execz .LBB0_102
.LBB0_34:                               ; =>This Loop Header: Depth=1
                                        ;     Child Loop BB0_65 Depth 2
                                        ;     Child Loop BB0_88 Depth 2
                                        ;       Child Loop BB0_100 Depth 3
                                        ;     Child Loop BB0_37 Depth 2
                                        ;     Child Loop BB0_60 Depth 2
	v_add_nc_u32_e32 v34, s104, v83
	v_readlane_b32 s28, v106, 4
	v_readlane_b32 s29, v106, 5
	v_readlane_b32 s8, v106, 0
	v_readlane_b32 s10, v106, 2
	v_ashrrev_i32_e32 v35, 31, v34
	v_readlane_b32 s0, v106, 14
	v_readlane_b32 s11, v106, 3
	;; [unrolled: 1-line block ×4, first 2 shown]
	v_lshlrev_b64 v[0:1], 2, v[34:35]
	v_readlane_b32 s9, v106, 1
	s_delay_alu instid0(VALU_DEP_2) | instskip(NEXT) | instid1(VALU_DEP_3)
	v_add_co_u32 v0, vcc_lo, s12, v0
	v_add_co_ci_u32_e32 v1, vcc_lo, s13, v1, vcc_lo
	global_load_b32 v4, v[0:1], off
	s_waitcnt vmcnt(0)
	v_ashrrev_i32_e32 v5, 31, v4
	s_delay_alu instid0(VALU_DEP_1) | instskip(NEXT) | instid1(VALU_DEP_1)
	v_lshlrev_b64 v[0:1], 2, v[4:5]
	v_add_co_u32 v0, vcc_lo, s28, v0
	s_delay_alu instid0(VALU_DEP_2) | instskip(SKIP_3) | instid1(VALU_DEP_1)
	v_add_co_ci_u32_e32 v1, vcc_lo, s29, v1, vcc_lo
	global_load_b32 v40, v[0:1], off
	s_waitcnt vmcnt(0)
	v_cvt_f64_i32_e32 v[0:1], v40
	v_div_scale_f64 v[2:3], null, v[0:1], v[0:1], 1.0
	v_div_scale_f64 v[9:10], vcc_lo, 1.0, v[0:1], 1.0
	s_delay_alu instid0(VALU_DEP_2) | instskip(SKIP_2) | instid1(VALU_DEP_1)
	v_rcp_f64_e32 v[5:6], v[2:3]
	s_waitcnt_depctr 0xfff
	v_fma_f64 v[7:8], -v[2:3], v[5:6], 1.0
	v_fma_f64 v[5:6], v[5:6], v[7:8], v[5:6]
	s_delay_alu instid0(VALU_DEP_1) | instskip(NEXT) | instid1(VALU_DEP_1)
	v_fma_f64 v[7:8], -v[2:3], v[5:6], 1.0
	v_fma_f64 v[5:6], v[5:6], v[7:8], v[5:6]
	s_delay_alu instid0(VALU_DEP_1) | instskip(NEXT) | instid1(VALU_DEP_1)
	v_mul_f64 v[7:8], v[9:10], v[5:6]
	v_fma_f64 v[2:3], -v[2:3], v[7:8], v[9:10]
	s_delay_alu instid0(VALU_DEP_1) | instskip(NEXT) | instid1(VALU_DEP_1)
	v_div_fmas_f64 v[2:3], v[2:3], v[5:6], v[7:8]
	v_div_fixup_f64 v[0:1], v[2:3], v[0:1], 1.0
	s_delay_alu instid0(VALU_DEP_1) | instskip(NEXT) | instid1(VALU_DEP_1)
	v_div_scale_f64 v[2:3], null, v[0:1], v[0:1], v[18:19]
	v_rcp_f64_e32 v[5:6], v[2:3]
	s_waitcnt_depctr 0xfff
	v_fma_f64 v[7:8], -v[2:3], v[5:6], 1.0
	s_delay_alu instid0(VALU_DEP_1) | instskip(NEXT) | instid1(VALU_DEP_1)
	v_fma_f64 v[5:6], v[5:6], v[7:8], v[5:6]
	v_fma_f64 v[7:8], -v[2:3], v[5:6], 1.0
	s_delay_alu instid0(VALU_DEP_1) | instskip(SKIP_1) | instid1(VALU_DEP_1)
	v_fma_f64 v[5:6], v[5:6], v[7:8], v[5:6]
	v_div_scale_f64 v[7:8], vcc_lo, v[18:19], v[0:1], v[18:19]
	v_mul_f64 v[9:10], v[7:8], v[5:6]
	s_delay_alu instid0(VALU_DEP_1) | instskip(NEXT) | instid1(VALU_DEP_1)
	v_fma_f64 v[2:3], -v[2:3], v[9:10], v[7:8]
	v_div_fmas_f64 v[2:3], v[2:3], v[5:6], v[9:10]
	v_mul_lo_u32 v6, v4, s10
	s_and_b32 vcc_lo, exec_lo, s0
	s_delay_alu instid0(VALU_DEP_1) | instskip(NEXT) | instid1(VALU_DEP_3)
	v_ashrrev_i32_e32 v7, 31, v6
	v_div_fixup_f64 v[0:1], v[2:3], v[0:1], v[18:19]
	s_delay_alu instid0(VALU_DEP_1)
	v_cvt_i32_f64_e32 v5, v[0:1]
	s_cbranch_vccz .LBB0_57
; %bb.35:                               ;   in Loop: Header=BB0_34 Depth=1
	s_delay_alu instid0(VALU_DEP_3) | instskip(SKIP_2) | instid1(VALU_DEP_2)
	v_lshlrev_b64 v[0:1], 3, v[6:7]
	v_mov_b32_e32 v41, v85
	s_mov_b32 s12, 0
	v_add_co_u32 v0, vcc_lo, s30, v0
	s_delay_alu instid0(VALU_DEP_3)
	v_add_co_ci_u32_e32 v1, vcc_lo, s31, v1, vcc_lo
	s_branch .LBB0_37
.LBB0_36:                               ;   in Loop: Header=BB0_37 Depth=2
	s_or_b32 exec_lo, exec_lo, s13
	v_mul_f64 v[8:9], v[36:37], v[36:37]
	s_mov_b32 s18, s88
	v_lshlrev_b32_e32 v2, 30, v31
	s_add_i32 s12, s12, 1
	s_delay_alu instid0(SALU_CYCLE_1) | instskip(NEXT) | instid1(VALU_DEP_1)
	s_cmp_lg_u32 s12, 4
	v_xor_b32_e32 v2, v2, v3
	v_and_b32_e32 v3, 1, v31
	s_delay_alu instid0(VALU_DEP_2) | instskip(NEXT) | instid1(VALU_DEP_2)
	v_and_b32_e32 v2, 0x80000000, v2
	v_cmp_eq_u32_e64 s0, 0, v3
	v_mul_f64 v[10:11], v[8:9], 0.5
	v_fma_f64 v[12:13], v[8:9], s[92:93], s[90:91]
	v_mul_f64 v[44:45], v[36:37], -v[8:9]
	s_delay_alu instid0(VALU_DEP_3) | instskip(NEXT) | instid1(VALU_DEP_3)
	v_add_f64 v[14:15], -v[10:11], 1.0
	v_fma_f64 v[12:13], v[8:9], v[12:13], s[94:95]
	s_delay_alu instid0(VALU_DEP_2) | instskip(NEXT) | instid1(VALU_DEP_2)
	v_add_f64 v[42:43], -v[14:15], 1.0
	v_fma_f64 v[12:13], v[8:9], v[12:13], s[96:97]
	s_delay_alu instid0(VALU_DEP_2) | instskip(SKIP_1) | instid1(VALU_DEP_3)
	v_add_f64 v[10:11], v[42:43], -v[10:11]
	v_mul_f64 v[42:43], v[38:39], 0.5
	v_fma_f64 v[12:13], v[8:9], v[12:13], s[98:99]
	s_delay_alu instid0(VALU_DEP_3) | instskip(NEXT) | instid1(VALU_DEP_2)
	v_fma_f64 v[10:11], v[36:37], -v[38:39], v[10:11]
	v_fma_f64 v[12:13], v[44:45], v[12:13], v[42:43]
	s_delay_alu instid0(VALU_DEP_1) | instskip(SKIP_1) | instid1(VALU_DEP_1)
	v_fma_f64 v[12:13], v[8:9], v[12:13], -v[38:39]
	v_fma_f64 v[38:39], v[8:9], s[80:81], s[78:79]
	v_fma_f64 v[38:39], v[8:9], v[38:39], s[82:83]
	s_delay_alu instid0(VALU_DEP_1) | instskip(NEXT) | instid1(VALU_DEP_1)
	v_fma_f64 v[38:39], v[8:9], v[38:39], s[84:85]
	v_fma_f64 v[38:39], v[8:9], v[38:39], s[86:87]
	s_delay_alu instid0(VALU_DEP_1) | instskip(SKIP_1) | instid1(VALU_DEP_1)
	v_fma_f64 v[38:39], v[8:9], v[38:39], s[88:89]
	v_mul_f64 v[8:9], v[8:9], v[8:9]
	v_fma_f64 v[8:9], v[8:9], v[38:39], v[10:11]
	v_fma_f64 v[10:11], v[44:45], s[18:19], v[12:13]
	s_delay_alu instid0(VALU_DEP_2) | instskip(NEXT) | instid1(VALU_DEP_2)
	v_add_f64 v[8:9], v[14:15], v[8:9]
	v_add_f64 v[10:11], v[36:37], -v[10:11]
	s_delay_alu instid0(VALU_DEP_1) | instskip(NEXT) | instid1(VALU_DEP_2)
	v_cndmask_b32_e64 v3, v9, v11, s0
	v_cndmask_b32_e64 v8, v8, v10, s0
	s_delay_alu instid0(VALU_DEP_2) | instskip(NEXT) | instid1(VALU_DEP_2)
	v_xor_b32_e32 v3, v3, v2
	v_cndmask_b32_e32 v2, 0, v8, vcc_lo
	s_delay_alu instid0(VALU_DEP_2)
	v_cndmask_b32_e64 v3, 0xfff80000, -v3, vcc_lo
	v_add_co_u32 v0, vcc_lo, v0, 8
	v_add_co_ci_u32_e32 v1, vcc_lo, 0, v1, vcc_lo
	ds_store_b64 v41, v[2:3] offset:8
	v_add_nc_u32_e32 v41, 16, v41
	s_cbranch_scc0 .LBB0_58
.LBB0_37:                               ;   Parent Loop BB0_34 Depth=1
                                        ; =>  This Inner Loop Header: Depth=2
	global_load_b64 v[2:3], v[0:1], off
	s_cmp_lt_i32 s12, 2
	s_waitcnt vmcnt(0)
	v_mul_f64 v[2:3], v[32:33], v[2:3]
	s_cbranch_scc1 .LBB0_42
; %bb.38:                               ;   in Loop: Header=BB0_37 Depth=2
	s_cmp_lt_i32 s12, 3
	s_cbranch_scc1 .LBB0_43
; %bb.39:                               ;   in Loop: Header=BB0_37 Depth=2
	s_delay_alu instid0(VALU_DEP_1)
	v_dual_mov_b32 v9, v3 :: v_dual_mov_b32 v8, v2
	s_cmp_eq_u32 s12, 3
	s_cbranch_scc0 .LBB0_41
; %bb.40:                               ;   in Loop: Header=BB0_37 Depth=2
	v_fma_f64 v[8:9], -v[2:3], v[2:3], 0x402e0000
	v_mul_f64 v[10:11], 0xc0180000, v[2:3]
	s_delay_alu instid0(VALU_DEP_2) | instskip(NEXT) | instid1(VALU_DEP_2)
	v_mul_f64 v[8:9], v[2:3], v[8:9]
	v_fma_f64 v[10:11], v[2:3], v[10:11], 0x402e0000
	s_delay_alu instid0(VALU_DEP_1) | instskip(SKIP_1) | instid1(VALU_DEP_2)
	v_div_scale_f64 v[12:13], null, v[10:11], v[10:11], v[8:9]
	v_div_scale_f64 v[38:39], vcc_lo, v[8:9], v[10:11], v[8:9]
	v_rcp_f64_e32 v[14:15], v[12:13]
	s_waitcnt_depctr 0xfff
	v_fma_f64 v[36:37], -v[12:13], v[14:15], 1.0
	s_delay_alu instid0(VALU_DEP_1) | instskip(NEXT) | instid1(VALU_DEP_1)
	v_fma_f64 v[14:15], v[14:15], v[36:37], v[14:15]
	v_fma_f64 v[36:37], -v[12:13], v[14:15], 1.0
	s_delay_alu instid0(VALU_DEP_1) | instskip(NEXT) | instid1(VALU_DEP_1)
	v_fma_f64 v[14:15], v[14:15], v[36:37], v[14:15]
	v_mul_f64 v[36:37], v[38:39], v[14:15]
	s_delay_alu instid0(VALU_DEP_1) | instskip(NEXT) | instid1(VALU_DEP_1)
	v_fma_f64 v[12:13], -v[12:13], v[36:37], v[38:39]
	v_div_fmas_f64 v[12:13], v[12:13], v[14:15], v[36:37]
	s_delay_alu instid0(VALU_DEP_1) | instskip(NEXT) | instid1(VALU_DEP_1)
	v_div_fixup_f64 v[8:9], v[12:13], v[10:11], v[8:9]
	v_dual_mov_b32 v10, v8 :: v_dual_and_b32 v11, 0x7fffffff, v9
	s_delay_alu instid0(VALU_DEP_1) | instskip(SKIP_1) | instid1(VALU_DEP_2)
	v_div_scale_f64 v[12:13], null, v[10:11], v[10:11], 1.0
	v_div_scale_f64 v[38:39], vcc_lo, 1.0, v[10:11], 1.0
	v_rcp_f64_e32 v[14:15], v[12:13]
	s_waitcnt_depctr 0xfff
	v_fma_f64 v[36:37], -v[12:13], v[14:15], 1.0
	s_delay_alu instid0(VALU_DEP_1) | instskip(NEXT) | instid1(VALU_DEP_1)
	v_fma_f64 v[14:15], v[14:15], v[36:37], v[14:15]
	v_fma_f64 v[36:37], -v[12:13], v[14:15], 1.0
	s_delay_alu instid0(VALU_DEP_1) | instskip(NEXT) | instid1(VALU_DEP_1)
	v_fma_f64 v[14:15], v[14:15], v[36:37], v[14:15]
	v_mul_f64 v[36:37], v[38:39], v[14:15]
	s_delay_alu instid0(VALU_DEP_1) | instskip(NEXT) | instid1(VALU_DEP_1)
	v_fma_f64 v[12:13], -v[12:13], v[36:37], v[38:39]
	v_div_fmas_f64 v[12:13], v[12:13], v[14:15], v[36:37]
	v_cmp_gt_f64_e64 vcc_lo, |v[8:9]|, 1.0
	s_delay_alu instid0(VALU_DEP_2) | instskip(NEXT) | instid1(VALU_DEP_1)
	v_div_fixup_f64 v[12:13], v[12:13], |v[8:9]|, 1.0
	v_dual_cndmask_b32 v11, v11, v13 :: v_dual_cndmask_b32 v10, v10, v12
	s_delay_alu instid0(VALU_DEP_1) | instskip(NEXT) | instid1(VALU_DEP_1)
	v_mul_f64 v[12:13], v[10:11], v[10:11]
	v_fma_f64 v[14:15], v[12:13], s[24:25], s[4:5]
	s_delay_alu instid0(VALU_DEP_1) | instskip(NEXT) | instid1(VALU_DEP_1)
	v_fma_f64 v[14:15], v[12:13], v[14:15], s[100:101]
	v_fma_f64 v[14:15], v[12:13], v[14:15], s[22:23]
	s_delay_alu instid0(VALU_DEP_1) | instskip(NEXT) | instid1(VALU_DEP_1)
	v_fma_f64 v[14:15], v[12:13], v[14:15], s[2:3]
	;; [unrolled: 3-line block ×9, first 2 shown]
	v_fma_f64 v[14:15], v[12:13], v[14:15], s[62:63]
	s_delay_alu instid0(VALU_DEP_1) | instskip(NEXT) | instid1(VALU_DEP_1)
	v_mul_f64 v[12:13], v[12:13], v[14:15]
	v_fma_f64 v[10:11], v[10:11], v[12:13], v[10:11]
	s_delay_alu instid0(VALU_DEP_1) | instskip(NEXT) | instid1(VALU_DEP_1)
	v_fma_f64 v[12:13], s[66:67], s[64:65], -v[10:11]
	v_dual_cndmask_b32 v11, v11, v13 :: v_dual_cndmask_b32 v8, v10, v12
	s_delay_alu instid0(VALU_DEP_1) | instskip(NEXT) | instid1(VALU_DEP_1)
	v_bfi_b32 v9, 0x7fffffff, v11, v9
	v_add_f64 v[8:9], v[2:3], -v[8:9]
.LBB0_41:                               ;   in Loop: Header=BB0_37 Depth=2
	s_cbranch_execz .LBB0_44
	s_branch .LBB0_45
.LBB0_42:                               ;   in Loop: Header=BB0_37 Depth=2
                                        ; implicit-def: $vgpr8_vgpr9
	s_branch .LBB0_46
.LBB0_43:                               ;   in Loop: Header=BB0_37 Depth=2
                                        ; implicit-def: $vgpr8_vgpr9
.LBB0_44:                               ;   in Loop: Header=BB0_37 Depth=2
	s_delay_alu instid0(VALU_DEP_1) | instskip(SKIP_1) | instid1(VALU_DEP_1)
	v_mul_f64 v[8:9], 0x40080000, v[2:3]
	v_fma_f64 v[10:11], -v[2:3], v[2:3], 0x40080000
	v_div_scale_f64 v[12:13], null, v[10:11], v[10:11], v[8:9]
	v_div_scale_f64 v[38:39], vcc_lo, v[8:9], v[10:11], v[8:9]
	s_delay_alu instid0(VALU_DEP_2) | instskip(SKIP_2) | instid1(VALU_DEP_1)
	v_rcp_f64_e32 v[14:15], v[12:13]
	s_waitcnt_depctr 0xfff
	v_fma_f64 v[36:37], -v[12:13], v[14:15], 1.0
	v_fma_f64 v[14:15], v[14:15], v[36:37], v[14:15]
	s_delay_alu instid0(VALU_DEP_1) | instskip(NEXT) | instid1(VALU_DEP_1)
	v_fma_f64 v[36:37], -v[12:13], v[14:15], 1.0
	v_fma_f64 v[14:15], v[14:15], v[36:37], v[14:15]
	s_delay_alu instid0(VALU_DEP_1) | instskip(NEXT) | instid1(VALU_DEP_1)
	v_mul_f64 v[36:37], v[38:39], v[14:15]
	v_fma_f64 v[12:13], -v[12:13], v[36:37], v[38:39]
	s_delay_alu instid0(VALU_DEP_1) | instskip(NEXT) | instid1(VALU_DEP_1)
	v_div_fmas_f64 v[12:13], v[12:13], v[14:15], v[36:37]
	v_div_fixup_f64 v[8:9], v[12:13], v[10:11], v[8:9]
	s_delay_alu instid0(VALU_DEP_1) | instskip(NEXT) | instid1(VALU_DEP_1)
	v_dual_mov_b32 v10, v8 :: v_dual_and_b32 v11, 0x7fffffff, v9
	v_div_scale_f64 v[12:13], null, v[10:11], v[10:11], 1.0
	v_div_scale_f64 v[38:39], vcc_lo, 1.0, v[10:11], 1.0
	s_delay_alu instid0(VALU_DEP_2) | instskip(SKIP_2) | instid1(VALU_DEP_1)
	v_rcp_f64_e32 v[14:15], v[12:13]
	s_waitcnt_depctr 0xfff
	v_fma_f64 v[36:37], -v[12:13], v[14:15], 1.0
	v_fma_f64 v[14:15], v[14:15], v[36:37], v[14:15]
	s_delay_alu instid0(VALU_DEP_1) | instskip(NEXT) | instid1(VALU_DEP_1)
	v_fma_f64 v[36:37], -v[12:13], v[14:15], 1.0
	v_fma_f64 v[14:15], v[14:15], v[36:37], v[14:15]
	s_delay_alu instid0(VALU_DEP_1) | instskip(NEXT) | instid1(VALU_DEP_1)
	v_mul_f64 v[36:37], v[38:39], v[14:15]
	v_fma_f64 v[12:13], -v[12:13], v[36:37], v[38:39]
	s_delay_alu instid0(VALU_DEP_1) | instskip(SKIP_1) | instid1(VALU_DEP_2)
	v_div_fmas_f64 v[12:13], v[12:13], v[14:15], v[36:37]
	v_cmp_gt_f64_e64 vcc_lo, |v[8:9]|, 1.0
	v_div_fixup_f64 v[12:13], v[12:13], |v[8:9]|, 1.0
	s_delay_alu instid0(VALU_DEP_1) | instskip(NEXT) | instid1(VALU_DEP_1)
	v_dual_cndmask_b32 v11, v11, v13 :: v_dual_cndmask_b32 v10, v10, v12
	v_mul_f64 v[12:13], v[10:11], v[10:11]
	s_delay_alu instid0(VALU_DEP_1) | instskip(NEXT) | instid1(VALU_DEP_1)
	v_fma_f64 v[14:15], v[12:13], s[24:25], s[4:5]
	v_fma_f64 v[14:15], v[12:13], v[14:15], s[100:101]
	s_delay_alu instid0(VALU_DEP_1) | instskip(NEXT) | instid1(VALU_DEP_1)
	v_fma_f64 v[14:15], v[12:13], v[14:15], s[22:23]
	v_fma_f64 v[14:15], v[12:13], v[14:15], s[2:3]
	;; [unrolled: 3-line block ×9, first 2 shown]
	s_delay_alu instid0(VALU_DEP_1) | instskip(NEXT) | instid1(VALU_DEP_1)
	v_fma_f64 v[14:15], v[12:13], v[14:15], s[62:63]
	v_mul_f64 v[12:13], v[12:13], v[14:15]
	s_delay_alu instid0(VALU_DEP_1) | instskip(NEXT) | instid1(VALU_DEP_1)
	v_fma_f64 v[10:11], v[10:11], v[12:13], v[10:11]
	v_fma_f64 v[12:13], s[66:67], s[64:65], -v[10:11]
	s_delay_alu instid0(VALU_DEP_1) | instskip(NEXT) | instid1(VALU_DEP_1)
	v_dual_cndmask_b32 v11, v11, v13 :: v_dual_cndmask_b32 v8, v10, v12
	v_bfi_b32 v9, 0x7fffffff, v11, v9
	s_delay_alu instid0(VALU_DEP_1)
	v_add_f64 v[8:9], v[2:3], -v[8:9]
.LBB0_45:                               ;   in Loop: Header=BB0_37 Depth=2
	s_cbranch_execnz .LBB0_49
.LBB0_46:                               ;   in Loop: Header=BB0_37 Depth=2
	s_cmp_lg_u32 s12, 1
	s_cbranch_scc1 .LBB0_48
; %bb.47:                               ;   in Loop: Header=BB0_37 Depth=2
	s_delay_alu instid0(VALU_DEP_1) | instskip(NEXT) | instid1(VALU_DEP_1)
	v_dual_mov_b32 v8, v2 :: v_dual_and_b32 v9, 0x7fffffff, v3
	v_div_scale_f64 v[10:11], null, v[8:9], v[8:9], 1.0
	v_div_scale_f64 v[36:37], vcc_lo, 1.0, v[8:9], 1.0
	s_delay_alu instid0(VALU_DEP_2) | instskip(SKIP_2) | instid1(VALU_DEP_1)
	v_rcp_f64_e32 v[12:13], v[10:11]
	s_waitcnt_depctr 0xfff
	v_fma_f64 v[14:15], -v[10:11], v[12:13], 1.0
	v_fma_f64 v[12:13], v[12:13], v[14:15], v[12:13]
	s_delay_alu instid0(VALU_DEP_1) | instskip(NEXT) | instid1(VALU_DEP_1)
	v_fma_f64 v[14:15], -v[10:11], v[12:13], 1.0
	v_fma_f64 v[12:13], v[12:13], v[14:15], v[12:13]
	s_delay_alu instid0(VALU_DEP_1) | instskip(NEXT) | instid1(VALU_DEP_1)
	v_mul_f64 v[14:15], v[36:37], v[12:13]
	v_fma_f64 v[10:11], -v[10:11], v[14:15], v[36:37]
	s_delay_alu instid0(VALU_DEP_1) | instskip(SKIP_1) | instid1(VALU_DEP_2)
	v_div_fmas_f64 v[10:11], v[10:11], v[12:13], v[14:15]
	v_cmp_gt_f64_e64 vcc_lo, |v[2:3]|, 1.0
	v_div_fixup_f64 v[10:11], v[10:11], |v[2:3]|, 1.0
	s_delay_alu instid0(VALU_DEP_1) | instskip(NEXT) | instid1(VALU_DEP_1)
	v_dual_cndmask_b32 v9, v9, v11 :: v_dual_cndmask_b32 v8, v8, v10
	v_mul_f64 v[10:11], v[8:9], v[8:9]
	s_delay_alu instid0(VALU_DEP_1) | instskip(NEXT) | instid1(VALU_DEP_1)
	v_fma_f64 v[12:13], v[10:11], s[24:25], s[4:5]
	v_fma_f64 v[12:13], v[10:11], v[12:13], s[100:101]
	s_delay_alu instid0(VALU_DEP_1) | instskip(NEXT) | instid1(VALU_DEP_1)
	v_fma_f64 v[12:13], v[10:11], v[12:13], s[22:23]
	v_fma_f64 v[12:13], v[10:11], v[12:13], s[2:3]
	;; [unrolled: 3-line block ×9, first 2 shown]
	s_delay_alu instid0(VALU_DEP_1) | instskip(NEXT) | instid1(VALU_DEP_1)
	v_fma_f64 v[12:13], v[10:11], v[12:13], s[62:63]
	v_mul_f64 v[10:11], v[10:11], v[12:13]
	s_delay_alu instid0(VALU_DEP_1) | instskip(NEXT) | instid1(VALU_DEP_1)
	v_fma_f64 v[8:9], v[8:9], v[10:11], v[8:9]
	v_fma_f64 v[10:11], s[66:67], s[64:65], -v[8:9]
	s_delay_alu instid0(VALU_DEP_1) | instskip(NEXT) | instid1(VALU_DEP_1)
	v_dual_cndmask_b32 v9, v9, v11 :: v_dual_cndmask_b32 v8, v8, v10
	v_bfi_b32 v9, 0x7fffffff, v9, v3
	s_delay_alu instid0(VALU_DEP_1)
	v_add_f64 v[2:3], v[2:3], v[8:9]
.LBB0_48:                               ;   in Loop: Header=BB0_37 Depth=2
	s_delay_alu instid0(VALU_DEP_1)
	v_dual_mov_b32 v9, v3 :: v_dual_mov_b32 v8, v2
.LBB0_49:                               ;   in Loop: Header=BB0_37 Depth=2
	s_delay_alu instid0(VALU_DEP_1) | instskip(NEXT) | instid1(VALU_DEP_1)
	v_add_f64 v[2:3], v[8:9], v[8:9]
                                        ; implicit-def: $vgpr31
                                        ; implicit-def: $vgpr36_vgpr37
                                        ; implicit-def: $vgpr38_vgpr39
	v_cmp_ngt_f64_e64 s13, 0x41d00000, |v[2:3]|
	v_trig_preop_f64 v[12:13], |v[2:3]|, 0
	v_trig_preop_f64 v[8:9], |v[2:3]|, 1
	v_ldexp_f64 v[14:15], |v[2:3]|, 0xffffff80
	v_trig_preop_f64 v[10:11], |v[2:3]|, 2
	v_and_b32_e32 v42, 0x7fffffff, v3
	s_and_saveexec_b32 s0, s13
	s_delay_alu instid0(SALU_CYCLE_1)
	s_xor_b32 s0, exec_lo, s0
	s_cbranch_execz .LBB0_51
; %bb.50:                               ;   in Loop: Header=BB0_37 Depth=2
	v_cmp_le_f64_e64 vcc_lo, 0x7b000000, |v[2:3]|
	s_delay_alu instid0(VALU_DEP_4) | instskip(SKIP_1) | instid1(VALU_DEP_1)
	v_cndmask_b32_e32 v37, v42, v15, vcc_lo
	v_cndmask_b32_e32 v36, v2, v14, vcc_lo
	v_mul_f64 v[38:39], v[12:13], v[36:37]
	v_mul_f64 v[43:44], v[8:9], v[36:37]
	s_delay_alu instid0(VALU_DEP_2) | instskip(NEXT) | instid1(VALU_DEP_1)
	v_fma_f64 v[45:46], v[12:13], v[36:37], -v[38:39]
	v_add_f64 v[47:48], v[43:44], v[45:46]
	s_delay_alu instid0(VALU_DEP_1) | instskip(NEXT) | instid1(VALU_DEP_1)
	v_add_f64 v[49:50], v[47:48], -v[43:44]
	v_add_f64 v[45:46], v[45:46], -v[49:50]
	;; [unrolled: 1-line block ×3, first 2 shown]
	s_delay_alu instid0(VALU_DEP_1) | instskip(SKIP_1) | instid1(VALU_DEP_2)
	v_add_f64 v[49:50], v[43:44], -v[49:50]
	v_fma_f64 v[43:44], v[8:9], v[36:37], -v[43:44]
	v_add_f64 v[45:46], v[45:46], v[49:50]
	v_mul_f64 v[49:50], v[10:11], v[36:37]
	s_delay_alu instid0(VALU_DEP_1) | instskip(NEXT) | instid1(VALU_DEP_1)
	v_add_f64 v[51:52], v[49:50], v[43:44]
	v_add_f64 v[53:54], v[51:52], -v[49:50]
	s_delay_alu instid0(VALU_DEP_1) | instskip(SKIP_1) | instid1(VALU_DEP_1)
	v_add_f64 v[43:44], v[43:44], -v[53:54]
	v_add_f64 v[53:54], v[51:52], -v[53:54]
	v_add_f64 v[53:54], v[49:50], -v[53:54]
	s_delay_alu instid0(VALU_DEP_1) | instskip(SKIP_1) | instid1(VALU_DEP_1)
	v_add_f64 v[43:44], v[43:44], v[53:54]
	v_add_f64 v[53:54], v[51:52], v[45:46]
	v_add_f64 v[55:56], v[53:54], -v[51:52]
	s_delay_alu instid0(VALU_DEP_1) | instskip(SKIP_1) | instid1(VALU_DEP_1)
	v_add_f64 v[45:46], v[45:46], -v[55:56]
	v_add_f64 v[55:56], v[53:54], -v[55:56]
	;; [unrolled: 1-line block ×3, first 2 shown]
	v_add_f64 v[55:56], v[38:39], v[47:48]
	s_delay_alu instid0(VALU_DEP_2) | instskip(NEXT) | instid1(VALU_DEP_2)
	v_add_f64 v[45:46], v[45:46], v[51:52]
	v_add_f64 v[38:39], v[55:56], -v[38:39]
	v_ldexp_f64 v[55:56], v[55:56], -2
	s_delay_alu instid0(VALU_DEP_3) | instskip(NEXT) | instid1(VALU_DEP_3)
	v_add_f64 v[43:44], v[43:44], v[45:46]
	v_add_f64 v[38:39], v[47:48], -v[38:39]
	s_delay_alu instid0(VALU_DEP_3) | instskip(SKIP_1) | instid1(VALU_DEP_3)
	v_fract_f64_e32 v[57:58], v[55:56]
	v_cmp_neq_f64_e64 vcc_lo, 0x7ff00000, |v[55:56]|
	v_add_f64 v[45:46], v[38:39], v[53:54]
	s_delay_alu instid0(VALU_DEP_3) | instskip(SKIP_1) | instid1(VALU_DEP_3)
	v_dual_cndmask_b32 v47, 0, v57 :: v_dual_cndmask_b32 v48, 0, v58
	v_fma_f64 v[36:37], v[10:11], v[36:37], -v[49:50]
	v_add_f64 v[38:39], v[45:46], -v[38:39]
	s_delay_alu instid0(VALU_DEP_2) | instskip(NEXT) | instid1(VALU_DEP_4)
	v_add_f64 v[36:37], v[36:37], v[43:44]
	v_ldexp_f64 v[43:44], v[47:48], 2
	s_delay_alu instid0(VALU_DEP_3) | instskip(NEXT) | instid1(VALU_DEP_2)
	v_add_f64 v[38:39], v[53:54], -v[38:39]
	v_add_f64 v[47:48], v[45:46], v[43:44]
	s_delay_alu instid0(VALU_DEP_2) | instskip(NEXT) | instid1(VALU_DEP_2)
	v_add_f64 v[36:37], v[38:39], v[36:37]
	v_cmp_gt_f64_e32 vcc_lo, 0, v[47:48]
	v_cndmask_b32_e64 v31, 0, 0x40100000, vcc_lo
	s_delay_alu instid0(VALU_DEP_1) | instskip(NEXT) | instid1(VALU_DEP_1)
	v_add_f64 v[43:44], v[43:44], v[30:31]
	v_add_f64 v[47:48], v[45:46], v[43:44]
	s_delay_alu instid0(VALU_DEP_1) | instskip(NEXT) | instid1(VALU_DEP_1)
	v_cvt_i32_f64_e32 v49, v[47:48]
	v_cvt_f64_i32_e32 v[47:48], v49
	s_delay_alu instid0(VALU_DEP_1) | instskip(NEXT) | instid1(VALU_DEP_1)
	v_add_f64 v[43:44], v[43:44], -v[47:48]
	v_add_f64 v[38:39], v[45:46], v[43:44]
	s_delay_alu instid0(VALU_DEP_1) | instskip(SKIP_1) | instid1(VALU_DEP_2)
	v_add_f64 v[43:44], v[38:39], -v[43:44]
	v_cmp_le_f64_e32 vcc_lo, 0.5, v[38:39]
	v_add_f64 v[43:44], v[45:46], -v[43:44]
	v_cndmask_b32_e64 v31, 0, 0x3ff00000, vcc_lo
	s_delay_alu instid0(VALU_DEP_1) | instskip(SKIP_1) | instid1(VALU_DEP_4)
	v_add_f64 v[38:39], v[38:39], -v[30:31]
	v_add_co_ci_u32_e32 v31, vcc_lo, 0, v49, vcc_lo
	v_add_f64 v[36:37], v[36:37], v[43:44]
	s_delay_alu instid0(VALU_DEP_1) | instskip(NEXT) | instid1(VALU_DEP_1)
	v_add_f64 v[43:44], v[38:39], v[36:37]
	v_add_f64 v[38:39], v[43:44], -v[38:39]
	s_delay_alu instid0(VALU_DEP_1) | instskip(SKIP_1) | instid1(VALU_DEP_1)
	v_add_f64 v[36:37], v[36:37], -v[38:39]
	v_mul_f64 v[38:39], v[43:44], s[68:69]
	v_fma_f64 v[45:46], v[43:44], s[68:69], -v[38:39]
	s_delay_alu instid0(VALU_DEP_1) | instskip(NEXT) | instid1(VALU_DEP_1)
	v_fma_f64 v[43:44], v[43:44], s[6:7], v[45:46]
	v_fma_f64 v[43:44], v[36:37], s[68:69], v[43:44]
	s_delay_alu instid0(VALU_DEP_1) | instskip(NEXT) | instid1(VALU_DEP_1)
	v_add_f64 v[36:37], v[38:39], v[43:44]
	v_add_f64 v[38:39], v[36:37], -v[38:39]
	s_delay_alu instid0(VALU_DEP_1)
	v_add_f64 v[38:39], v[43:44], -v[38:39]
.LBB0_51:                               ;   in Loop: Header=BB0_37 Depth=2
	s_and_not1_saveexec_b32 s14, s0
	s_cbranch_execz .LBB0_53
; %bb.52:                               ;   in Loop: Header=BB0_37 Depth=2
	v_mul_f64 v[36:37], |v[2:3]|, s[72:73]
	s_mov_b32 s0, s68
	s_mov_b32 s8, s74
	;; [unrolled: 1-line block ×3, first 2 shown]
	s_delay_alu instid0(VALU_DEP_1) | instskip(NEXT) | instid1(VALU_DEP_1)
	v_rndne_f64_e32 v[43:44], v[36:37]
	v_fma_f64 v[36:37], v[43:44], s[0:1], |v[2:3]|
	v_mul_f64 v[38:39], v[43:44], s[74:75]
	v_cvt_i32_f64_e32 v31, v[43:44]
	s_delay_alu instid0(VALU_DEP_3) | instskip(NEXT) | instid1(VALU_DEP_3)
	v_fma_f64 v[47:48], v[43:44], s[74:75], v[36:37]
	v_add_f64 v[45:46], v[36:37], v[38:39]
	s_delay_alu instid0(VALU_DEP_1) | instskip(NEXT) | instid1(VALU_DEP_3)
	v_add_f64 v[36:37], v[36:37], -v[45:46]
	v_add_f64 v[45:46], v[45:46], -v[47:48]
	s_delay_alu instid0(VALU_DEP_2) | instskip(SKIP_1) | instid1(VALU_DEP_2)
	v_add_f64 v[36:37], v[36:37], v[38:39]
	v_fma_f64 v[38:39], v[43:44], s[8:9], v[38:39]
	v_add_f64 v[36:37], v[45:46], v[36:37]
	s_delay_alu instid0(VALU_DEP_1) | instskip(NEXT) | instid1(VALU_DEP_1)
	v_add_f64 v[36:37], v[36:37], -v[38:39]
	v_fma_f64 v[38:39], v[43:44], s[76:77], v[36:37]
	s_delay_alu instid0(VALU_DEP_1) | instskip(NEXT) | instid1(VALU_DEP_1)
	v_add_f64 v[36:37], v[47:48], v[38:39]
	v_add_f64 v[45:46], v[36:37], -v[47:48]
	s_delay_alu instid0(VALU_DEP_1)
	v_add_f64 v[38:39], v[38:39], -v[45:46]
.LBB0_53:                               ;   in Loop: Header=BB0_37 Depth=2
	s_or_b32 exec_lo, exec_lo, s14
	v_mul_f64 v[43:44], v[36:37], v[36:37]
	s_delay_alu instid0(VALU_DEP_2) | instskip(SKIP_1) | instid1(VALU_DEP_2)
	v_mul_f64 v[53:54], v[38:39], 0.5
	s_mov_b32 s18, s88
	v_mul_f64 v[45:46], v[43:44], 0.5
	v_fma_f64 v[47:48], v[43:44], s[92:93], s[90:91]
	s_delay_alu instid0(VALU_DEP_2) | instskip(NEXT) | instid1(VALU_DEP_2)
	v_add_f64 v[49:50], -v[45:46], 1.0
	v_fma_f64 v[47:48], v[43:44], v[47:48], s[94:95]
	s_delay_alu instid0(VALU_DEP_2) | instskip(NEXT) | instid1(VALU_DEP_2)
	v_add_f64 v[51:52], -v[49:50], 1.0
	v_fma_f64 v[47:48], v[43:44], v[47:48], s[96:97]
	s_delay_alu instid0(VALU_DEP_2) | instskip(SKIP_1) | instid1(VALU_DEP_3)
	v_add_f64 v[45:46], v[51:52], -v[45:46]
	v_mul_f64 v[51:52], v[36:37], -v[43:44]
	v_fma_f64 v[47:48], v[43:44], v[47:48], s[98:99]
	s_delay_alu instid0(VALU_DEP_1) | instskip(SKIP_1) | instid1(VALU_DEP_2)
	v_fma_f64 v[47:48], v[51:52], v[47:48], v[53:54]
	v_fma_f64 v[53:54], v[43:44], s[80:81], s[78:79]
	v_fma_f64 v[47:48], v[43:44], v[47:48], -v[38:39]
	s_delay_alu instid0(VALU_DEP_2) | instskip(SKIP_2) | instid1(VALU_DEP_4)
	v_fma_f64 v[53:54], v[43:44], v[53:54], s[82:83]
	v_fma_f64 v[38:39], v[36:37], -v[38:39], v[45:46]
	v_mul_f64 v[45:46], v[43:44], v[43:44]
	v_fma_f64 v[47:48], v[51:52], s[18:19], v[47:48]
	s_delay_alu instid0(VALU_DEP_4) | instskip(NEXT) | instid1(VALU_DEP_2)
	v_fma_f64 v[53:54], v[43:44], v[53:54], s[84:85]
	v_add_f64 v[36:37], v[36:37], -v[47:48]
	s_delay_alu instid0(VALU_DEP_2) | instskip(NEXT) | instid1(VALU_DEP_2)
	v_fma_f64 v[53:54], v[43:44], v[53:54], s[86:87]
	v_xor_b32_e32 v37, 0x80000000, v37
	s_delay_alu instid0(VALU_DEP_2) | instskip(NEXT) | instid1(VALU_DEP_1)
	v_fma_f64 v[43:44], v[43:44], v[53:54], s[88:89]
	v_fma_f64 v[38:39], v[45:46], v[43:44], v[38:39]
	s_delay_alu instid0(VALU_DEP_1) | instskip(SKIP_2) | instid1(VALU_DEP_2)
	v_add_f64 v[38:39], v[49:50], v[38:39]
	v_and_b32_e32 v43, 1, v31
	v_lshlrev_b32_e32 v31, 30, v31
	v_cmp_eq_u32_e32 vcc_lo, 0, v43
	s_delay_alu instid0(VALU_DEP_2) | instskip(SKIP_2) | instid1(VALU_DEP_3)
	v_dual_cndmask_b32 v36, v36, v38 :: v_dual_and_b32 v31, 0x80000000, v31
	v_cndmask_b32_e32 v37, v37, v39, vcc_lo
	v_cmp_class_f64_e64 vcc_lo, v[2:3], 0x1f8
                                        ; implicit-def: $vgpr38_vgpr39
	v_cndmask_b32_e32 v36, 0, v36, vcc_lo
	s_delay_alu instid0(VALU_DEP_3) | instskip(NEXT) | instid1(VALU_DEP_1)
	v_xor_b32_e32 v31, v37, v31
	v_cndmask_b32_e32 v37, 0x7ff80000, v31, vcc_lo
                                        ; implicit-def: $vgpr31
	ds_store_b64 v41, v[36:37]
                                        ; implicit-def: $vgpr36_vgpr37
	s_and_saveexec_b32 s0, s13
	s_delay_alu instid0(SALU_CYCLE_1)
	s_xor_b32 s13, exec_lo, s0
	s_cbranch_execz .LBB0_55
; %bb.54:                               ;   in Loop: Header=BB0_37 Depth=2
	v_cmp_le_f64_e64 s0, 0x7b000000, |v[2:3]|
	s_delay_alu instid0(VALU_DEP_1) | instskip(SKIP_1) | instid1(VALU_DEP_1)
	v_cndmask_b32_e64 v15, v42, v15, s0
	v_cndmask_b32_e64 v14, v2, v14, s0
	v_mul_f64 v[36:37], v[12:13], v[14:15]
	v_mul_f64 v[38:39], v[8:9], v[14:15]
	;; [unrolled: 1-line block ×3, first 2 shown]
	s_delay_alu instid0(VALU_DEP_3) | instskip(NEXT) | instid1(VALU_DEP_3)
	v_fma_f64 v[12:13], v[12:13], v[14:15], -v[36:37]
	v_fma_f64 v[8:9], v[8:9], v[14:15], -v[38:39]
	s_delay_alu instid0(VALU_DEP_3) | instskip(NEXT) | instid1(VALU_DEP_3)
	v_fma_f64 v[10:11], v[10:11], v[14:15], -v[42:43]
	v_add_f64 v[44:45], v[38:39], v[12:13]
	s_delay_alu instid0(VALU_DEP_1) | instskip(NEXT) | instid1(VALU_DEP_1)
	v_add_f64 v[14:15], v[44:45], -v[38:39]
	v_add_f64 v[12:13], v[12:13], -v[14:15]
	;; [unrolled: 1-line block ×3, first 2 shown]
	s_delay_alu instid0(VALU_DEP_1) | instskip(SKIP_1) | instid1(VALU_DEP_2)
	v_add_f64 v[14:15], v[38:39], -v[14:15]
	v_add_f64 v[38:39], v[36:37], v[44:45]
	v_add_f64 v[12:13], v[12:13], v[14:15]
	s_delay_alu instid0(VALU_DEP_2) | instskip(SKIP_1) | instid1(VALU_DEP_2)
	v_add_f64 v[36:37], v[38:39], -v[36:37]
	v_ldexp_f64 v[38:39], v[38:39], -2
	v_add_f64 v[36:37], v[44:45], -v[36:37]
	v_add_f64 v[44:45], v[42:43], v[8:9]
	s_delay_alu instid0(VALU_DEP_3) | instskip(SKIP_1) | instid1(VALU_DEP_3)
	v_fract_f64_e32 v[14:15], v[38:39]
	v_cmp_neq_f64_e64 s0, 0x7ff00000, |v[38:39]|
	v_add_f64 v[38:39], v[44:45], -v[42:43]
	s_delay_alu instid0(VALU_DEP_2) | instskip(NEXT) | instid1(VALU_DEP_4)
	v_cndmask_b32_e64 v15, 0, v15, s0
	v_cndmask_b32_e64 v14, 0, v14, s0
	s_delay_alu instid0(VALU_DEP_1) | instskip(NEXT) | instid1(VALU_DEP_4)
	v_ldexp_f64 v[14:15], v[14:15], 2
	v_add_f64 v[8:9], v[8:9], -v[38:39]
	v_add_f64 v[38:39], v[44:45], -v[38:39]
	s_delay_alu instid0(VALU_DEP_1) | instskip(SKIP_1) | instid1(VALU_DEP_2)
	v_add_f64 v[38:39], v[42:43], -v[38:39]
	v_add_f64 v[42:43], v[44:45], v[12:13]
	v_add_f64 v[8:9], v[8:9], v[38:39]
	s_delay_alu instid0(VALU_DEP_2) | instskip(NEXT) | instid1(VALU_DEP_1)
	v_add_f64 v[38:39], v[42:43], -v[44:45]
	v_add_f64 v[12:13], v[12:13], -v[38:39]
	;; [unrolled: 1-line block ×3, first 2 shown]
	s_delay_alu instid0(VALU_DEP_1) | instskip(SKIP_1) | instid1(VALU_DEP_2)
	v_add_f64 v[38:39], v[44:45], -v[38:39]
	v_add_f64 v[44:45], v[36:37], v[42:43]
	v_add_f64 v[12:13], v[12:13], v[38:39]
	s_delay_alu instid0(VALU_DEP_2) | instskip(SKIP_1) | instid1(VALU_DEP_3)
	v_add_f64 v[46:47], v[44:45], v[14:15]
	v_add_f64 v[36:37], v[44:45], -v[36:37]
	v_add_f64 v[8:9], v[8:9], v[12:13]
	s_delay_alu instid0(VALU_DEP_3) | instskip(NEXT) | instid1(VALU_DEP_3)
	v_cmp_gt_f64_e64 s0, 0, v[46:47]
	v_add_f64 v[36:37], v[42:43], -v[36:37]
	s_delay_alu instid0(VALU_DEP_3) | instskip(NEXT) | instid1(VALU_DEP_3)
	v_add_f64 v[8:9], v[10:11], v[8:9]
	v_cndmask_b32_e64 v31, 0, 0x40100000, s0
	s_delay_alu instid0(VALU_DEP_1) | instskip(NEXT) | instid1(VALU_DEP_3)
	v_add_f64 v[14:15], v[14:15], v[30:31]
	v_add_f64 v[8:9], v[36:37], v[8:9]
	s_delay_alu instid0(VALU_DEP_2) | instskip(NEXT) | instid1(VALU_DEP_1)
	v_add_f64 v[38:39], v[44:45], v[14:15]
	v_cvt_i32_f64_e32 v46, v[38:39]
	s_delay_alu instid0(VALU_DEP_1) | instskip(NEXT) | instid1(VALU_DEP_1)
	v_cvt_f64_i32_e32 v[38:39], v46
	v_add_f64 v[14:15], v[14:15], -v[38:39]
	s_delay_alu instid0(VALU_DEP_1) | instskip(NEXT) | instid1(VALU_DEP_1)
	v_add_f64 v[12:13], v[44:45], v[14:15]
	v_add_f64 v[10:11], v[12:13], -v[14:15]
	v_cmp_le_f64_e64 s0, 0.5, v[12:13]
	s_delay_alu instid0(VALU_DEP_2) | instskip(NEXT) | instid1(VALU_DEP_2)
	v_add_f64 v[10:11], v[44:45], -v[10:11]
	v_cndmask_b32_e64 v31, 0, 0x3ff00000, s0
	s_delay_alu instid0(VALU_DEP_1) | instskip(SKIP_1) | instid1(VALU_DEP_4)
	v_add_f64 v[12:13], v[12:13], -v[30:31]
	v_add_co_ci_u32_e64 v31, s0, 0, v46, s0
	v_add_f64 v[8:9], v[8:9], v[10:11]
	s_delay_alu instid0(VALU_DEP_1) | instskip(NEXT) | instid1(VALU_DEP_1)
	v_add_f64 v[10:11], v[12:13], v[8:9]
	v_mul_f64 v[14:15], v[10:11], s[68:69]
	v_add_f64 v[12:13], v[10:11], -v[12:13]
	s_delay_alu instid0(VALU_DEP_2) | instskip(NEXT) | instid1(VALU_DEP_2)
	v_fma_f64 v[36:37], v[10:11], s[68:69], -v[14:15]
	v_add_f64 v[8:9], v[8:9], -v[12:13]
	s_delay_alu instid0(VALU_DEP_2) | instskip(NEXT) | instid1(VALU_DEP_1)
	v_fma_f64 v[10:11], v[10:11], s[6:7], v[36:37]
	v_fma_f64 v[8:9], v[8:9], s[68:69], v[10:11]
	s_delay_alu instid0(VALU_DEP_1) | instskip(NEXT) | instid1(VALU_DEP_1)
	v_add_f64 v[36:37], v[14:15], v[8:9]
	v_add_f64 v[10:11], v[36:37], -v[14:15]
	s_delay_alu instid0(VALU_DEP_1)
	v_add_f64 v[38:39], v[8:9], -v[10:11]
.LBB0_55:                               ;   in Loop: Header=BB0_37 Depth=2
	s_and_not1_saveexec_b32 s13, s13
	s_cbranch_execz .LBB0_36
; %bb.56:                               ;   in Loop: Header=BB0_37 Depth=2
	v_mul_f64 v[8:9], |v[2:3]|, s[72:73]
	s_mov_b32 s0, s68
	s_mov_b32 s8, s74
	;; [unrolled: 1-line block ×3, first 2 shown]
	s_delay_alu instid0(VALU_DEP_1) | instskip(NEXT) | instid1(VALU_DEP_1)
	v_rndne_f64_e32 v[8:9], v[8:9]
	v_fma_f64 v[10:11], v[8:9], s[0:1], |v[2:3]|
	v_mul_f64 v[12:13], v[8:9], s[74:75]
	v_cvt_i32_f64_e32 v31, v[8:9]
	s_delay_alu instid0(VALU_DEP_3) | instskip(NEXT) | instid1(VALU_DEP_3)
	v_fma_f64 v[38:39], v[8:9], s[74:75], v[10:11]
	v_add_f64 v[14:15], v[10:11], v[12:13]
	s_delay_alu instid0(VALU_DEP_1) | instskip(NEXT) | instid1(VALU_DEP_3)
	v_add_f64 v[10:11], v[10:11], -v[14:15]
	v_add_f64 v[14:15], v[14:15], -v[38:39]
	s_delay_alu instid0(VALU_DEP_2) | instskip(SKIP_1) | instid1(VALU_DEP_2)
	v_add_f64 v[10:11], v[10:11], v[12:13]
	v_fma_f64 v[12:13], v[8:9], s[8:9], v[12:13]
	v_add_f64 v[10:11], v[14:15], v[10:11]
	s_delay_alu instid0(VALU_DEP_1) | instskip(NEXT) | instid1(VALU_DEP_1)
	v_add_f64 v[10:11], v[10:11], -v[12:13]
	v_fma_f64 v[10:11], v[8:9], s[76:77], v[10:11]
	s_delay_alu instid0(VALU_DEP_1) | instskip(NEXT) | instid1(VALU_DEP_1)
	v_add_f64 v[36:37], v[38:39], v[10:11]
	v_add_f64 v[12:13], v[36:37], -v[38:39]
	s_delay_alu instid0(VALU_DEP_1)
	v_add_f64 v[38:39], v[10:11], -v[12:13]
	s_branch .LBB0_36
.LBB0_57:                               ;   in Loop: Header=BB0_34 Depth=1
                                        ; implicit-def: $vgpr2_vgpr3
                                        ; implicit-def: $vgpr0_vgpr1
                                        ; implicit-def: $vgpr38_vgpr39
                                        ; implicit-def: $vgpr36_vgpr37
	s_cbranch_execz .LBB0_33
	s_branch .LBB0_63
.LBB0_58:                               ;   in Loop: Header=BB0_34 Depth=1
	v_mad_u64_u32 v[0:1], null, v4, s11, v[5:6]
	v_cmp_eq_u32_e32 vcc_lo, v40, v5
	v_readlane_b32 s8, v106, 8
	v_readlane_b32 s9, v106, 9
	s_mov_b32 s12, exec_lo
	s_delay_alu instid0(VALU_DEP_4) | instskip(NEXT) | instid1(VALU_DEP_1)
	v_subrev_co_ci_u32_e32 v0, vcc_lo, 0, v0, vcc_lo
	v_ashrrev_i32_e32 v1, 31, v0
	s_delay_alu instid0(VALU_DEP_1) | instskip(NEXT) | instid1(VALU_DEP_1)
	v_lshlrev_b64 v[0:1], 5, v[0:1]
	v_add_co_u32 v0, vcc_lo, s8, v0
	s_delay_alu instid0(VALU_DEP_2)
	v_add_co_ci_u32_e32 v1, vcc_lo, s9, v1, vcc_lo
	s_clause 0x1
	global_load_b128 v[8:11], v[0:1], off
	global_load_b128 v[0:3], v[0:1], off offset:16
	s_waitcnt vmcnt(1)
	v_mul_f64 v[36:37], v[18:19], v[8:9]
	v_mul_f64 v[38:39], v[18:19], v[10:11]
	s_waitcnt vmcnt(0)
	v_mul_f64 v[0:1], v[18:19], v[0:1]
	v_cmpx_lt_i32_e64 v2, v3
	s_cbranch_execz .LBB0_62
; %bb.59:                               ;   in Loop: Header=BB0_34 Depth=1
	v_readlane_b32 s8, v106, 10
	v_readlane_b32 s9, v106, 11
	s_mov_b32 s13, 0
	s_delay_alu instid0(VALU_DEP_2) | instskip(SKIP_2) | instid1(VALU_DEP_1)
	v_mad_u64_u32 v[10:11], null, v4, s8, v[2:3]
	v_readlane_b32 s8, v106, 12
	v_readlane_b32 s9, v106, 13
	v_mad_i64_i32 v[8:9], null, 0x48, v10, s[8:9]
.LBB0_60:                               ;   Parent Loop BB0_34 Depth=1
                                        ; =>  This Inner Loop Header: Depth=2
	s_clause 0x1
	global_load_b128 v[10:13], v[8:9], off
	global_load_b128 v[41:44], v[8:9], off offset:16
	v_add_nc_u32_e32 v2, 1, v2
	s_waitcnt vmcnt(1)
	v_add_f64 v[10:11], v[10:11], -v[32:33]
	v_mul_f64 v[14:15], v[12:13], v[12:13]
	s_delay_alu instid0(VALU_DEP_2) | instskip(SKIP_1) | instid1(VALU_DEP_3)
	v_fma_f64 v[45:46], v[10:11], 0, v[12:13]
	v_fma_f64 v[12:13], 0x80000000, v[12:13], v[10:11]
	;; [unrolled: 1-line block ×3, first 2 shown]
	s_delay_alu instid0(VALU_DEP_1) | instskip(NEXT) | instid1(VALU_DEP_1)
	v_div_scale_f64 v[14:15], null, v[10:11], v[10:11], v[45:46]
	v_rcp_f64_e32 v[47:48], v[14:15]
	s_waitcnt_depctr 0xfff
	v_fma_f64 v[49:50], -v[14:15], v[47:48], 1.0
	s_delay_alu instid0(VALU_DEP_1) | instskip(NEXT) | instid1(VALU_DEP_1)
	v_fma_f64 v[47:48], v[47:48], v[49:50], v[47:48]
	v_fma_f64 v[49:50], -v[14:15], v[47:48], 1.0
	s_delay_alu instid0(VALU_DEP_1) | instskip(SKIP_1) | instid1(VALU_DEP_1)
	v_fma_f64 v[47:48], v[47:48], v[49:50], v[47:48]
	v_div_scale_f64 v[49:50], vcc_lo, v[45:46], v[10:11], v[45:46]
	v_mul_f64 v[51:52], v[49:50], v[47:48]
	s_delay_alu instid0(VALU_DEP_1) | instskip(NEXT) | instid1(VALU_DEP_1)
	v_fma_f64 v[14:15], -v[14:15], v[51:52], v[49:50]
	v_div_fmas_f64 v[14:15], v[14:15], v[47:48], v[51:52]
	v_div_scale_f64 v[47:48], null, v[10:11], v[10:11], v[12:13]
	s_delay_alu instid0(VALU_DEP_2) | instskip(NEXT) | instid1(VALU_DEP_2)
	v_div_fixup_f64 v[14:15], v[14:15], v[10:11], v[45:46]
	v_rcp_f64_e32 v[49:50], v[47:48]
	s_waitcnt_depctr 0xfff
	v_fma_f64 v[51:52], -v[47:48], v[49:50], 1.0
	s_delay_alu instid0(VALU_DEP_1) | instskip(NEXT) | instid1(VALU_DEP_1)
	v_fma_f64 v[49:50], v[49:50], v[51:52], v[49:50]
	v_fma_f64 v[51:52], -v[47:48], v[49:50], 1.0
	s_delay_alu instid0(VALU_DEP_1) | instskip(SKIP_1) | instid1(VALU_DEP_1)
	v_fma_f64 v[49:50], v[49:50], v[51:52], v[49:50]
	v_div_scale_f64 v[51:52], vcc_lo, v[12:13], v[10:11], v[12:13]
	v_mul_f64 v[53:54], v[51:52], v[49:50]
	s_delay_alu instid0(VALU_DEP_1) | instskip(NEXT) | instid1(VALU_DEP_1)
	v_fma_f64 v[47:48], -v[47:48], v[53:54], v[51:52]
	v_div_fmas_f64 v[47:48], v[47:48], v[49:50], v[53:54]
	s_delay_alu instid0(VALU_DEP_1) | instskip(NEXT) | instid1(VALU_DEP_1)
	v_div_fixup_f64 v[10:11], v[47:48], v[10:11], v[12:13]
	v_mul_f64 v[12:13], v[10:11], 0
	s_delay_alu instid0(VALU_DEP_1) | instskip(SKIP_1) | instid1(VALU_DEP_2)
	v_fma_f64 v[12:13], v[18:19], v[14:15], v[12:13]
	v_mul_f64 v[14:15], 0x80000000, v[14:15]
	v_div_scale_f64 v[45:46], null, v[26:27], v[26:27], v[12:13]
	s_delay_alu instid0(VALU_DEP_2) | instskip(NEXT) | instid1(VALU_DEP_2)
	v_fma_f64 v[10:11], v[18:19], v[10:11], v[14:15]
	v_rcp_f64_e32 v[47:48], v[45:46]
	s_delay_alu instid0(VALU_DEP_1) | instskip(SKIP_2) | instid1(VALU_DEP_1)
	v_div_scale_f64 v[14:15], null, v[26:27], v[26:27], v[10:11]
	s_waitcnt_depctr 0xfff
	v_fma_f64 v[49:50], -v[45:46], v[47:48], 1.0
	v_fma_f64 v[47:48], v[47:48], v[49:50], v[47:48]
	s_delay_alu instid0(VALU_DEP_1) | instskip(NEXT) | instid1(VALU_DEP_1)
	v_fma_f64 v[49:50], -v[45:46], v[47:48], 1.0
	v_fma_f64 v[47:48], v[47:48], v[49:50], v[47:48]
	v_div_scale_f64 v[49:50], vcc_lo, v[12:13], v[26:27], v[12:13]
	s_delay_alu instid0(VALU_DEP_1) | instskip(NEXT) | instid1(VALU_DEP_1)
	v_mul_f64 v[51:52], v[49:50], v[47:48]
	v_fma_f64 v[45:46], -v[45:46], v[51:52], v[49:50]
	s_delay_alu instid0(VALU_DEP_1) | instskip(SKIP_3) | instid1(VALU_DEP_1)
	v_div_fmas_f64 v[45:46], v[45:46], v[47:48], v[51:52]
	v_rcp_f64_e32 v[47:48], v[14:15]
	s_waitcnt_depctr 0xfff
	v_fma_f64 v[49:50], -v[14:15], v[47:48], 1.0
	v_fma_f64 v[47:48], v[47:48], v[49:50], v[47:48]
	s_delay_alu instid0(VALU_DEP_1) | instskip(NEXT) | instid1(VALU_DEP_1)
	v_fma_f64 v[49:50], -v[14:15], v[47:48], 1.0
	v_fma_f64 v[47:48], v[47:48], v[49:50], v[47:48]
	v_div_scale_f64 v[49:50], vcc_lo, v[10:11], v[26:27], v[10:11]
	s_delay_alu instid0(VALU_DEP_1) | instskip(NEXT) | instid1(VALU_DEP_1)
	v_mul_f64 v[51:52], v[49:50], v[47:48]
	v_fma_f64 v[14:15], -v[14:15], v[51:52], v[49:50]
	v_div_fixup_f64 v[49:50], v[45:46], v[26:27], v[12:13]
	s_delay_alu instid0(VALU_DEP_2) | instskip(SKIP_2) | instid1(VALU_DEP_2)
	v_div_fmas_f64 v[14:15], v[14:15], v[47:48], v[51:52]
	v_cmp_ge_i32_e32 vcc_lo, v2, v3
	s_or_b32 s13, vcc_lo, s13
	v_div_fixup_f64 v[14:15], v[14:15], v[26:27], v[10:11]
	global_load_i16 v10, v[8:9], off offset:64
	s_waitcnt vmcnt(0)
	v_lshl_add_u32 v10, v10, 4, v85
	ds_load_b128 v[10:13], v10
	s_waitcnt lgkmcnt(0)
	v_mul_f64 v[45:46], v[49:50], v[12:13]
	v_mul_f64 v[12:13], v[14:15], v[12:13]
	s_delay_alu instid0(VALU_DEP_2) | instskip(NEXT) | instid1(VALU_DEP_2)
	v_fma_f64 v[51:52], v[14:15], v[10:11], v[45:46]
	v_fma_f64 v[53:54], v[49:50], v[10:11], -v[12:13]
	s_clause 0x1
	global_load_b128 v[10:13], v[8:9], off offset:32
	global_load_b128 v[45:48], v[8:9], off offset:48
	v_add_co_u32 v8, s0, 0x48, v8
	s_delay_alu instid0(VALU_DEP_1) | instskip(SKIP_2) | instid1(VALU_DEP_1)
	v_add_co_ci_u32_e64 v9, s0, 0, v9, s0
	s_waitcnt vmcnt(1)
	v_mul_f64 v[12:13], v[12:13], v[14:15]
	v_fma_f64 v[10:11], v[10:11], v[49:50], -v[12:13]
	s_waitcnt vmcnt(0)
	v_mul_f64 v[12:13], v[47:48], v[14:15]
	v_mul_f64 v[14:15], v[43:44], v[51:52]
	s_delay_alu instid0(VALU_DEP_3) | instskip(NEXT) | instid1(VALU_DEP_3)
	v_add_f64 v[38:39], v[38:39], v[10:11]
	v_fma_f64 v[12:13], v[45:46], v[49:50], -v[12:13]
	s_delay_alu instid0(VALU_DEP_3) | instskip(NEXT) | instid1(VALU_DEP_2)
	v_fma_f64 v[14:15], v[41:42], v[53:54], -v[14:15]
	v_add_f64 v[0:1], v[0:1], v[12:13]
	s_delay_alu instid0(VALU_DEP_2)
	v_add_f64 v[36:37], v[36:37], v[14:15]
	s_and_not1_b32 exec_lo, exec_lo, s13
	s_cbranch_execnz .LBB0_60
; %bb.61:                               ;   in Loop: Header=BB0_34 Depth=1
	s_or_b32 exec_lo, exec_lo, s13
.LBB0_62:                               ;   in Loop: Header=BB0_34 Depth=1
	s_delay_alu instid0(SALU_CYCLE_1) | instskip(NEXT) | instid1(VALU_DEP_1)
	s_or_b32 exec_lo, exec_lo, s12
	v_add_f64 v[2:3], v[36:37], -v[38:39]
	s_branch .LBB0_33
.LBB0_63:                               ;   in Loop: Header=BB0_34 Depth=1
	v_lshlrev_b64 v[0:1], 3, v[6:7]
	v_readlane_b32 s26, v106, 12
	v_mov_b32_e32 v38, v84
	v_readlane_b32 s27, v106, 13
	s_mov_b32 s28, 0xafdb7b46
	s_mov_b32 s12, 0
	v_add_co_u32 v0, vcc_lo, s30, v0
	v_add_co_ci_u32_e32 v1, vcc_lo, s31, v1, vcc_lo
	s_mov_b32 s30, 0x7cdfff0d
	s_mov_b32 s29, 0xbfd19dc7
	;; [unrolled: 1-line block ×3, first 2 shown]
	s_branch .LBB0_65
.LBB0_64:                               ;   in Loop: Header=BB0_65 Depth=2
	s_or_b32 exec_lo, exec_lo, s13
	v_mul_f64 v[6:7], v[14:15], v[14:15]
	s_mov_b32 s18, s88
	v_lshlrev_b32_e32 v2, 30, v31
	s_add_i32 s12, s12, 1
	s_delay_alu instid0(SALU_CYCLE_1) | instskip(NEXT) | instid1(VALU_DEP_1)
	s_cmp_lg_u32 s12, 4
	v_xor_b32_e32 v2, v2, v3
	v_and_b32_e32 v3, 1, v31
	s_delay_alu instid0(VALU_DEP_2) | instskip(NEXT) | instid1(VALU_DEP_2)
	v_and_b32_e32 v2, 0x80000000, v2
	v_cmp_eq_u32_e64 s0, 0, v3
	v_mul_f64 v[8:9], v[6:7], 0.5
	v_fma_f64 v[10:11], v[6:7], s[92:93], s[90:91]
	v_mul_f64 v[43:44], v[14:15], -v[6:7]
	s_delay_alu instid0(VALU_DEP_3) | instskip(NEXT) | instid1(VALU_DEP_3)
	v_add_f64 v[12:13], -v[8:9], 1.0
	v_fma_f64 v[10:11], v[6:7], v[10:11], s[94:95]
	s_delay_alu instid0(VALU_DEP_2) | instskip(NEXT) | instid1(VALU_DEP_2)
	v_add_f64 v[41:42], -v[12:13], 1.0
	v_fma_f64 v[10:11], v[6:7], v[10:11], s[96:97]
	s_delay_alu instid0(VALU_DEP_2) | instskip(SKIP_1) | instid1(VALU_DEP_3)
	v_add_f64 v[8:9], v[41:42], -v[8:9]
	v_mul_f64 v[41:42], v[36:37], 0.5
	v_fma_f64 v[10:11], v[6:7], v[10:11], s[98:99]
	s_delay_alu instid0(VALU_DEP_3) | instskip(NEXT) | instid1(VALU_DEP_2)
	v_fma_f64 v[8:9], v[14:15], -v[36:37], v[8:9]
	v_fma_f64 v[10:11], v[43:44], v[10:11], v[41:42]
	s_delay_alu instid0(VALU_DEP_1) | instskip(SKIP_1) | instid1(VALU_DEP_1)
	v_fma_f64 v[10:11], v[6:7], v[10:11], -v[36:37]
	v_fma_f64 v[36:37], v[6:7], s[80:81], s[78:79]
	v_fma_f64 v[36:37], v[6:7], v[36:37], s[82:83]
	s_delay_alu instid0(VALU_DEP_1) | instskip(NEXT) | instid1(VALU_DEP_1)
	v_fma_f64 v[36:37], v[6:7], v[36:37], s[84:85]
	v_fma_f64 v[36:37], v[6:7], v[36:37], s[86:87]
	s_delay_alu instid0(VALU_DEP_1) | instskip(SKIP_1) | instid1(VALU_DEP_1)
	v_fma_f64 v[36:37], v[6:7], v[36:37], s[88:89]
	v_mul_f64 v[6:7], v[6:7], v[6:7]
	v_fma_f64 v[6:7], v[6:7], v[36:37], v[8:9]
	v_fma_f64 v[8:9], v[43:44], s[18:19], v[10:11]
	s_delay_alu instid0(VALU_DEP_2) | instskip(NEXT) | instid1(VALU_DEP_2)
	v_add_f64 v[6:7], v[12:13], v[6:7]
	v_add_f64 v[8:9], v[14:15], -v[8:9]
	s_delay_alu instid0(VALU_DEP_1) | instskip(NEXT) | instid1(VALU_DEP_2)
	v_cndmask_b32_e64 v3, v7, v9, s0
	v_cndmask_b32_e64 v6, v6, v8, s0
	s_delay_alu instid0(VALU_DEP_2) | instskip(NEXT) | instid1(VALU_DEP_2)
	v_xor_b32_e32 v3, v3, v2
	v_cndmask_b32_e32 v2, 0, v6, vcc_lo
	s_delay_alu instid0(VALU_DEP_2)
	v_cndmask_b32_e64 v3, 0xfff80000, -v3, vcc_lo
	v_add_co_u32 v0, vcc_lo, v0, 8
	v_add_co_ci_u32_e32 v1, vcc_lo, 0, v1, vcc_lo
	scratch_store_b64 v38, v[2:3], off
	v_add_nc_u32_e32 v38, 16, v38
	s_cbranch_scc0 .LBB0_85
.LBB0_65:                               ;   Parent Loop BB0_34 Depth=1
                                        ; =>  This Inner Loop Header: Depth=2
	global_load_b64 v[2:3], v[0:1], off
	s_cmp_lt_i32 s12, 2
	s_waitcnt vmcnt(0)
	v_mul_f64 v[2:3], v[32:33], v[2:3]
	s_cbranch_scc1 .LBB0_70
; %bb.66:                               ;   in Loop: Header=BB0_65 Depth=2
	s_cmp_lt_i32 s12, 3
	s_cbranch_scc1 .LBB0_71
; %bb.67:                               ;   in Loop: Header=BB0_65 Depth=2
	s_delay_alu instid0(VALU_DEP_1)
	v_dual_mov_b32 v7, v3 :: v_dual_mov_b32 v6, v2
	s_cmp_eq_u32 s12, 3
	s_cbranch_scc0 .LBB0_69
; %bb.68:                               ;   in Loop: Header=BB0_65 Depth=2
	v_fma_f64 v[6:7], -v[2:3], v[2:3], 0x402e0000
	v_mul_f64 v[8:9], 0xc0180000, v[2:3]
	s_delay_alu instid0(VALU_DEP_2) | instskip(NEXT) | instid1(VALU_DEP_2)
	v_mul_f64 v[6:7], v[2:3], v[6:7]
	v_fma_f64 v[8:9], v[2:3], v[8:9], 0x402e0000
	s_delay_alu instid0(VALU_DEP_1) | instskip(SKIP_1) | instid1(VALU_DEP_2)
	v_div_scale_f64 v[10:11], null, v[8:9], v[8:9], v[6:7]
	v_div_scale_f64 v[36:37], vcc_lo, v[6:7], v[8:9], v[6:7]
	v_rcp_f64_e32 v[12:13], v[10:11]
	s_waitcnt_depctr 0xfff
	v_fma_f64 v[14:15], -v[10:11], v[12:13], 1.0
	s_delay_alu instid0(VALU_DEP_1) | instskip(NEXT) | instid1(VALU_DEP_1)
	v_fma_f64 v[12:13], v[12:13], v[14:15], v[12:13]
	v_fma_f64 v[14:15], -v[10:11], v[12:13], 1.0
	s_delay_alu instid0(VALU_DEP_1) | instskip(NEXT) | instid1(VALU_DEP_1)
	v_fma_f64 v[12:13], v[12:13], v[14:15], v[12:13]
	v_mul_f64 v[14:15], v[36:37], v[12:13]
	s_delay_alu instid0(VALU_DEP_1) | instskip(NEXT) | instid1(VALU_DEP_1)
	v_fma_f64 v[10:11], -v[10:11], v[14:15], v[36:37]
	v_div_fmas_f64 v[10:11], v[10:11], v[12:13], v[14:15]
	s_delay_alu instid0(VALU_DEP_1) | instskip(NEXT) | instid1(VALU_DEP_1)
	v_div_fixup_f64 v[6:7], v[10:11], v[8:9], v[6:7]
	v_dual_mov_b32 v8, v6 :: v_dual_and_b32 v9, 0x7fffffff, v7
	s_delay_alu instid0(VALU_DEP_1) | instskip(SKIP_1) | instid1(VALU_DEP_2)
	v_div_scale_f64 v[10:11], null, v[8:9], v[8:9], 1.0
	v_div_scale_f64 v[36:37], vcc_lo, 1.0, v[8:9], 1.0
	v_rcp_f64_e32 v[12:13], v[10:11]
	s_waitcnt_depctr 0xfff
	v_fma_f64 v[14:15], -v[10:11], v[12:13], 1.0
	s_delay_alu instid0(VALU_DEP_1) | instskip(NEXT) | instid1(VALU_DEP_1)
	v_fma_f64 v[12:13], v[12:13], v[14:15], v[12:13]
	v_fma_f64 v[14:15], -v[10:11], v[12:13], 1.0
	s_delay_alu instid0(VALU_DEP_1) | instskip(NEXT) | instid1(VALU_DEP_1)
	v_fma_f64 v[12:13], v[12:13], v[14:15], v[12:13]
	v_mul_f64 v[14:15], v[36:37], v[12:13]
	s_delay_alu instid0(VALU_DEP_1) | instskip(NEXT) | instid1(VALU_DEP_1)
	v_fma_f64 v[10:11], -v[10:11], v[14:15], v[36:37]
	v_div_fmas_f64 v[10:11], v[10:11], v[12:13], v[14:15]
	v_cmp_gt_f64_e64 vcc_lo, |v[6:7]|, 1.0
	s_delay_alu instid0(VALU_DEP_2) | instskip(NEXT) | instid1(VALU_DEP_1)
	v_div_fixup_f64 v[10:11], v[10:11], |v[6:7]|, 1.0
	v_dual_cndmask_b32 v9, v9, v11 :: v_dual_cndmask_b32 v8, v8, v10
	s_delay_alu instid0(VALU_DEP_1) | instskip(NEXT) | instid1(VALU_DEP_1)
	v_mul_f64 v[10:11], v[8:9], v[8:9]
	v_fma_f64 v[12:13], v[10:11], s[24:25], s[4:5]
	s_delay_alu instid0(VALU_DEP_1) | instskip(NEXT) | instid1(VALU_DEP_1)
	v_fma_f64 v[12:13], v[10:11], v[12:13], s[100:101]
	v_fma_f64 v[12:13], v[10:11], v[12:13], s[22:23]
	s_delay_alu instid0(VALU_DEP_1) | instskip(NEXT) | instid1(VALU_DEP_1)
	v_fma_f64 v[12:13], v[10:11], v[12:13], s[2:3]
	;; [unrolled: 3-line block ×9, first 2 shown]
	v_fma_f64 v[12:13], v[10:11], v[12:13], s[62:63]
	s_delay_alu instid0(VALU_DEP_1) | instskip(NEXT) | instid1(VALU_DEP_1)
	v_mul_f64 v[10:11], v[10:11], v[12:13]
	v_fma_f64 v[8:9], v[8:9], v[10:11], v[8:9]
	s_delay_alu instid0(VALU_DEP_1) | instskip(NEXT) | instid1(VALU_DEP_1)
	v_fma_f64 v[10:11], s[66:67], s[64:65], -v[8:9]
	v_dual_cndmask_b32 v9, v9, v11 :: v_dual_cndmask_b32 v6, v8, v10
	s_delay_alu instid0(VALU_DEP_1) | instskip(NEXT) | instid1(VALU_DEP_1)
	v_bfi_b32 v7, 0x7fffffff, v9, v7
	v_add_f64 v[6:7], v[2:3], -v[6:7]
.LBB0_69:                               ;   in Loop: Header=BB0_65 Depth=2
	s_cbranch_execz .LBB0_72
	s_branch .LBB0_73
.LBB0_70:                               ;   in Loop: Header=BB0_65 Depth=2
                                        ; implicit-def: $vgpr6_vgpr7
	s_branch .LBB0_74
.LBB0_71:                               ;   in Loop: Header=BB0_65 Depth=2
                                        ; implicit-def: $vgpr6_vgpr7
.LBB0_72:                               ;   in Loop: Header=BB0_65 Depth=2
	s_delay_alu instid0(VALU_DEP_1) | instskip(SKIP_1) | instid1(VALU_DEP_1)
	v_mul_f64 v[6:7], 0x40080000, v[2:3]
	v_fma_f64 v[8:9], -v[2:3], v[2:3], 0x40080000
	v_div_scale_f64 v[10:11], null, v[8:9], v[8:9], v[6:7]
	v_div_scale_f64 v[36:37], vcc_lo, v[6:7], v[8:9], v[6:7]
	s_delay_alu instid0(VALU_DEP_2) | instskip(SKIP_2) | instid1(VALU_DEP_1)
	v_rcp_f64_e32 v[12:13], v[10:11]
	s_waitcnt_depctr 0xfff
	v_fma_f64 v[14:15], -v[10:11], v[12:13], 1.0
	v_fma_f64 v[12:13], v[12:13], v[14:15], v[12:13]
	s_delay_alu instid0(VALU_DEP_1) | instskip(NEXT) | instid1(VALU_DEP_1)
	v_fma_f64 v[14:15], -v[10:11], v[12:13], 1.0
	v_fma_f64 v[12:13], v[12:13], v[14:15], v[12:13]
	s_delay_alu instid0(VALU_DEP_1) | instskip(NEXT) | instid1(VALU_DEP_1)
	v_mul_f64 v[14:15], v[36:37], v[12:13]
	v_fma_f64 v[10:11], -v[10:11], v[14:15], v[36:37]
	s_delay_alu instid0(VALU_DEP_1) | instskip(NEXT) | instid1(VALU_DEP_1)
	v_div_fmas_f64 v[10:11], v[10:11], v[12:13], v[14:15]
	v_div_fixup_f64 v[6:7], v[10:11], v[8:9], v[6:7]
	s_delay_alu instid0(VALU_DEP_1) | instskip(NEXT) | instid1(VALU_DEP_1)
	v_dual_mov_b32 v8, v6 :: v_dual_and_b32 v9, 0x7fffffff, v7
	v_div_scale_f64 v[10:11], null, v[8:9], v[8:9], 1.0
	v_div_scale_f64 v[36:37], vcc_lo, 1.0, v[8:9], 1.0
	s_delay_alu instid0(VALU_DEP_2) | instskip(SKIP_2) | instid1(VALU_DEP_1)
	v_rcp_f64_e32 v[12:13], v[10:11]
	s_waitcnt_depctr 0xfff
	v_fma_f64 v[14:15], -v[10:11], v[12:13], 1.0
	v_fma_f64 v[12:13], v[12:13], v[14:15], v[12:13]
	s_delay_alu instid0(VALU_DEP_1) | instskip(NEXT) | instid1(VALU_DEP_1)
	v_fma_f64 v[14:15], -v[10:11], v[12:13], 1.0
	v_fma_f64 v[12:13], v[12:13], v[14:15], v[12:13]
	s_delay_alu instid0(VALU_DEP_1) | instskip(NEXT) | instid1(VALU_DEP_1)
	v_mul_f64 v[14:15], v[36:37], v[12:13]
	v_fma_f64 v[10:11], -v[10:11], v[14:15], v[36:37]
	s_delay_alu instid0(VALU_DEP_1) | instskip(SKIP_1) | instid1(VALU_DEP_2)
	v_div_fmas_f64 v[10:11], v[10:11], v[12:13], v[14:15]
	v_cmp_gt_f64_e64 vcc_lo, |v[6:7]|, 1.0
	v_div_fixup_f64 v[10:11], v[10:11], |v[6:7]|, 1.0
	s_delay_alu instid0(VALU_DEP_1) | instskip(NEXT) | instid1(VALU_DEP_1)
	v_dual_cndmask_b32 v9, v9, v11 :: v_dual_cndmask_b32 v8, v8, v10
	v_mul_f64 v[10:11], v[8:9], v[8:9]
	s_delay_alu instid0(VALU_DEP_1) | instskip(NEXT) | instid1(VALU_DEP_1)
	v_fma_f64 v[12:13], v[10:11], s[24:25], s[4:5]
	v_fma_f64 v[12:13], v[10:11], v[12:13], s[100:101]
	s_delay_alu instid0(VALU_DEP_1) | instskip(NEXT) | instid1(VALU_DEP_1)
	v_fma_f64 v[12:13], v[10:11], v[12:13], s[22:23]
	v_fma_f64 v[12:13], v[10:11], v[12:13], s[2:3]
	;; [unrolled: 3-line block ×9, first 2 shown]
	s_delay_alu instid0(VALU_DEP_1) | instskip(NEXT) | instid1(VALU_DEP_1)
	v_fma_f64 v[12:13], v[10:11], v[12:13], s[62:63]
	v_mul_f64 v[10:11], v[10:11], v[12:13]
	s_delay_alu instid0(VALU_DEP_1) | instskip(NEXT) | instid1(VALU_DEP_1)
	v_fma_f64 v[8:9], v[8:9], v[10:11], v[8:9]
	v_fma_f64 v[10:11], s[66:67], s[64:65], -v[8:9]
	s_delay_alu instid0(VALU_DEP_1) | instskip(NEXT) | instid1(VALU_DEP_1)
	v_dual_cndmask_b32 v9, v9, v11 :: v_dual_cndmask_b32 v6, v8, v10
	v_bfi_b32 v7, 0x7fffffff, v9, v7
	s_delay_alu instid0(VALU_DEP_1)
	v_add_f64 v[6:7], v[2:3], -v[6:7]
.LBB0_73:                               ;   in Loop: Header=BB0_65 Depth=2
	s_cbranch_execnz .LBB0_77
.LBB0_74:                               ;   in Loop: Header=BB0_65 Depth=2
	s_cmp_lg_u32 s12, 1
	s_cbranch_scc1 .LBB0_76
; %bb.75:                               ;   in Loop: Header=BB0_65 Depth=2
	s_delay_alu instid0(VALU_DEP_1) | instskip(NEXT) | instid1(VALU_DEP_1)
	v_dual_mov_b32 v6, v2 :: v_dual_and_b32 v7, 0x7fffffff, v3
	v_div_scale_f64 v[8:9], null, v[6:7], v[6:7], 1.0
	v_div_scale_f64 v[14:15], vcc_lo, 1.0, v[6:7], 1.0
	s_delay_alu instid0(VALU_DEP_2) | instskip(SKIP_2) | instid1(VALU_DEP_1)
	v_rcp_f64_e32 v[10:11], v[8:9]
	s_waitcnt_depctr 0xfff
	v_fma_f64 v[12:13], -v[8:9], v[10:11], 1.0
	v_fma_f64 v[10:11], v[10:11], v[12:13], v[10:11]
	s_delay_alu instid0(VALU_DEP_1) | instskip(NEXT) | instid1(VALU_DEP_1)
	v_fma_f64 v[12:13], -v[8:9], v[10:11], 1.0
	v_fma_f64 v[10:11], v[10:11], v[12:13], v[10:11]
	s_delay_alu instid0(VALU_DEP_1) | instskip(NEXT) | instid1(VALU_DEP_1)
	v_mul_f64 v[12:13], v[14:15], v[10:11]
	v_fma_f64 v[8:9], -v[8:9], v[12:13], v[14:15]
	s_delay_alu instid0(VALU_DEP_1) | instskip(SKIP_1) | instid1(VALU_DEP_2)
	v_div_fmas_f64 v[8:9], v[8:9], v[10:11], v[12:13]
	v_cmp_gt_f64_e64 vcc_lo, |v[2:3]|, 1.0
	v_div_fixup_f64 v[8:9], v[8:9], |v[2:3]|, 1.0
	s_delay_alu instid0(VALU_DEP_1) | instskip(NEXT) | instid1(VALU_DEP_1)
	v_dual_cndmask_b32 v7, v7, v9 :: v_dual_cndmask_b32 v6, v6, v8
	v_mul_f64 v[8:9], v[6:7], v[6:7]
	s_delay_alu instid0(VALU_DEP_1) | instskip(NEXT) | instid1(VALU_DEP_1)
	v_fma_f64 v[10:11], v[8:9], s[24:25], s[4:5]
	v_fma_f64 v[10:11], v[8:9], v[10:11], s[100:101]
	s_delay_alu instid0(VALU_DEP_1) | instskip(NEXT) | instid1(VALU_DEP_1)
	v_fma_f64 v[10:11], v[8:9], v[10:11], s[22:23]
	v_fma_f64 v[10:11], v[8:9], v[10:11], s[2:3]
	;; [unrolled: 3-line block ×9, first 2 shown]
	s_delay_alu instid0(VALU_DEP_1) | instskip(NEXT) | instid1(VALU_DEP_1)
	v_fma_f64 v[10:11], v[8:9], v[10:11], s[62:63]
	v_mul_f64 v[8:9], v[8:9], v[10:11]
	s_delay_alu instid0(VALU_DEP_1) | instskip(NEXT) | instid1(VALU_DEP_1)
	v_fma_f64 v[6:7], v[6:7], v[8:9], v[6:7]
	v_fma_f64 v[8:9], s[66:67], s[64:65], -v[6:7]
	s_delay_alu instid0(VALU_DEP_1) | instskip(NEXT) | instid1(VALU_DEP_1)
	v_dual_cndmask_b32 v7, v7, v9 :: v_dual_cndmask_b32 v6, v6, v8
	v_bfi_b32 v7, 0x7fffffff, v7, v3
	s_delay_alu instid0(VALU_DEP_1)
	v_add_f64 v[2:3], v[2:3], v[6:7]
.LBB0_76:                               ;   in Loop: Header=BB0_65 Depth=2
	s_delay_alu instid0(VALU_DEP_1)
	v_dual_mov_b32 v7, v3 :: v_dual_mov_b32 v6, v2
.LBB0_77:                               ;   in Loop: Header=BB0_65 Depth=2
	s_delay_alu instid0(VALU_DEP_1) | instskip(NEXT) | instid1(VALU_DEP_1)
	v_add_f64 v[2:3], v[6:7], v[6:7]
                                        ; implicit-def: $vgpr31
                                        ; implicit-def: $vgpr14_vgpr15
                                        ; implicit-def: $vgpr36_vgpr37
	v_cmp_ngt_f64_e64 s13, 0x41d00000, |v[2:3]|
	v_trig_preop_f64 v[10:11], |v[2:3]|, 0
	v_trig_preop_f64 v[6:7], |v[2:3]|, 1
	v_ldexp_f64 v[12:13], |v[2:3]|, 0xffffff80
	v_trig_preop_f64 v[8:9], |v[2:3]|, 2
	v_and_b32_e32 v39, 0x7fffffff, v3
	s_and_saveexec_b32 s0, s13
	s_delay_alu instid0(SALU_CYCLE_1)
	s_xor_b32 s0, exec_lo, s0
	s_cbranch_execz .LBB0_79
; %bb.78:                               ;   in Loop: Header=BB0_65 Depth=2
	v_cmp_le_f64_e64 vcc_lo, 0x7b000000, |v[2:3]|
	s_delay_alu instid0(VALU_DEP_4) | instskip(NEXT) | instid1(VALU_DEP_1)
	v_dual_cndmask_b32 v15, v39, v13 :: v_dual_cndmask_b32 v14, v2, v12
	v_mul_f64 v[36:37], v[10:11], v[14:15]
	v_mul_f64 v[41:42], v[6:7], v[14:15]
	s_delay_alu instid0(VALU_DEP_2) | instskip(NEXT) | instid1(VALU_DEP_1)
	v_fma_f64 v[43:44], v[10:11], v[14:15], -v[36:37]
	v_add_f64 v[45:46], v[41:42], v[43:44]
	s_delay_alu instid0(VALU_DEP_1) | instskip(NEXT) | instid1(VALU_DEP_1)
	v_add_f64 v[47:48], v[45:46], -v[41:42]
	v_add_f64 v[43:44], v[43:44], -v[47:48]
	;; [unrolled: 1-line block ×3, first 2 shown]
	s_delay_alu instid0(VALU_DEP_1) | instskip(SKIP_1) | instid1(VALU_DEP_2)
	v_add_f64 v[47:48], v[41:42], -v[47:48]
	v_fma_f64 v[41:42], v[6:7], v[14:15], -v[41:42]
	v_add_f64 v[43:44], v[43:44], v[47:48]
	v_mul_f64 v[47:48], v[8:9], v[14:15]
	s_delay_alu instid0(VALU_DEP_1) | instskip(SKIP_1) | instid1(VALU_DEP_2)
	v_add_f64 v[49:50], v[47:48], v[41:42]
	v_fma_f64 v[14:15], v[8:9], v[14:15], -v[47:48]
	v_add_f64 v[51:52], v[49:50], -v[47:48]
	s_delay_alu instid0(VALU_DEP_1) | instskip(SKIP_1) | instid1(VALU_DEP_1)
	v_add_f64 v[41:42], v[41:42], -v[51:52]
	v_add_f64 v[51:52], v[49:50], -v[51:52]
	;; [unrolled: 1-line block ×3, first 2 shown]
	s_delay_alu instid0(VALU_DEP_1) | instskip(SKIP_1) | instid1(VALU_DEP_1)
	v_add_f64 v[41:42], v[41:42], v[51:52]
	v_add_f64 v[51:52], v[49:50], v[43:44]
	v_add_f64 v[53:54], v[51:52], -v[49:50]
	s_delay_alu instid0(VALU_DEP_1) | instskip(SKIP_1) | instid1(VALU_DEP_1)
	v_add_f64 v[43:44], v[43:44], -v[53:54]
	v_add_f64 v[53:54], v[51:52], -v[53:54]
	;; [unrolled: 1-line block ×3, first 2 shown]
	v_add_f64 v[53:54], v[36:37], v[45:46]
	s_delay_alu instid0(VALU_DEP_2) | instskip(NEXT) | instid1(VALU_DEP_2)
	v_add_f64 v[43:44], v[43:44], v[49:50]
	v_add_f64 v[36:37], v[53:54], -v[36:37]
	v_ldexp_f64 v[53:54], v[53:54], -2
	s_delay_alu instid0(VALU_DEP_3) | instskip(NEXT) | instid1(VALU_DEP_3)
	v_add_f64 v[41:42], v[41:42], v[43:44]
	v_add_f64 v[36:37], v[45:46], -v[36:37]
	s_delay_alu instid0(VALU_DEP_3) | instskip(SKIP_1) | instid1(VALU_DEP_4)
	v_fract_f64_e32 v[55:56], v[53:54]
	v_cmp_neq_f64_e64 vcc_lo, 0x7ff00000, |v[53:54]|
	v_add_f64 v[14:15], v[14:15], v[41:42]
	s_delay_alu instid0(VALU_DEP_4) | instskip(NEXT) | instid1(VALU_DEP_4)
	v_add_f64 v[43:44], v[36:37], v[51:52]
	v_dual_cndmask_b32 v46, 0, v56 :: v_dual_cndmask_b32 v45, 0, v55
	s_delay_alu instid0(VALU_DEP_1) | instskip(NEXT) | instid1(VALU_DEP_3)
	v_ldexp_f64 v[41:42], v[45:46], 2
	v_add_f64 v[36:37], v[43:44], -v[36:37]
	s_delay_alu instid0(VALU_DEP_2) | instskip(NEXT) | instid1(VALU_DEP_2)
	v_add_f64 v[45:46], v[43:44], v[41:42]
	v_add_f64 v[36:37], v[51:52], -v[36:37]
	s_delay_alu instid0(VALU_DEP_2) | instskip(NEXT) | instid1(VALU_DEP_2)
	v_cmp_gt_f64_e32 vcc_lo, 0, v[45:46]
	v_add_f64 v[14:15], v[36:37], v[14:15]
	v_cndmask_b32_e64 v31, 0, 0x40100000, vcc_lo
	s_delay_alu instid0(VALU_DEP_1) | instskip(NEXT) | instid1(VALU_DEP_1)
	v_add_f64 v[41:42], v[41:42], v[30:31]
	v_add_f64 v[45:46], v[43:44], v[41:42]
	s_delay_alu instid0(VALU_DEP_1) | instskip(NEXT) | instid1(VALU_DEP_1)
	v_cvt_i32_f64_e32 v47, v[45:46]
	v_cvt_f64_i32_e32 v[45:46], v47
	s_delay_alu instid0(VALU_DEP_1) | instskip(NEXT) | instid1(VALU_DEP_1)
	v_add_f64 v[41:42], v[41:42], -v[45:46]
	v_add_f64 v[36:37], v[43:44], v[41:42]
	s_delay_alu instid0(VALU_DEP_1) | instskip(SKIP_1) | instid1(VALU_DEP_2)
	v_add_f64 v[41:42], v[36:37], -v[41:42]
	v_cmp_le_f64_e32 vcc_lo, 0.5, v[36:37]
	v_add_f64 v[41:42], v[43:44], -v[41:42]
	v_cndmask_b32_e64 v31, 0, 0x3ff00000, vcc_lo
	s_delay_alu instid0(VALU_DEP_1) | instskip(SKIP_1) | instid1(VALU_DEP_4)
	v_add_f64 v[36:37], v[36:37], -v[30:31]
	v_add_co_ci_u32_e32 v31, vcc_lo, 0, v47, vcc_lo
	v_add_f64 v[14:15], v[14:15], v[41:42]
	s_delay_alu instid0(VALU_DEP_1) | instskip(NEXT) | instid1(VALU_DEP_1)
	v_add_f64 v[41:42], v[36:37], v[14:15]
	v_add_f64 v[36:37], v[41:42], -v[36:37]
	s_delay_alu instid0(VALU_DEP_1) | instskip(SKIP_1) | instid1(VALU_DEP_1)
	v_add_f64 v[14:15], v[14:15], -v[36:37]
	v_mul_f64 v[36:37], v[41:42], s[68:69]
	v_fma_f64 v[43:44], v[41:42], s[68:69], -v[36:37]
	s_delay_alu instid0(VALU_DEP_1) | instskip(NEXT) | instid1(VALU_DEP_1)
	v_fma_f64 v[41:42], v[41:42], s[6:7], v[43:44]
	v_fma_f64 v[41:42], v[14:15], s[68:69], v[41:42]
	s_delay_alu instid0(VALU_DEP_1) | instskip(NEXT) | instid1(VALU_DEP_1)
	v_add_f64 v[14:15], v[36:37], v[41:42]
	v_add_f64 v[36:37], v[14:15], -v[36:37]
	s_delay_alu instid0(VALU_DEP_1)
	v_add_f64 v[36:37], v[41:42], -v[36:37]
.LBB0_79:                               ;   in Loop: Header=BB0_65 Depth=2
	s_and_not1_saveexec_b32 s14, s0
	s_cbranch_execz .LBB0_81
; %bb.80:                               ;   in Loop: Header=BB0_65 Depth=2
	v_mul_f64 v[14:15], |v[2:3]|, s[72:73]
	s_mov_b32 s0, s68
	s_mov_b32 vcc_lo, s74
	s_mov_b32 vcc_hi, s7
	s_delay_alu instid0(VALU_DEP_1) | instskip(NEXT) | instid1(VALU_DEP_1)
	v_rndne_f64_e32 v[41:42], v[14:15]
	v_fma_f64 v[14:15], v[41:42], s[0:1], |v[2:3]|
	v_mul_f64 v[36:37], v[41:42], s[74:75]
	v_cvt_i32_f64_e32 v31, v[41:42]
	s_delay_alu instid0(VALU_DEP_3) | instskip(NEXT) | instid1(VALU_DEP_3)
	v_fma_f64 v[45:46], v[41:42], s[74:75], v[14:15]
	v_add_f64 v[43:44], v[14:15], v[36:37]
	s_delay_alu instid0(VALU_DEP_1) | instskip(NEXT) | instid1(VALU_DEP_3)
	v_add_f64 v[14:15], v[14:15], -v[43:44]
	v_add_f64 v[43:44], v[43:44], -v[45:46]
	s_delay_alu instid0(VALU_DEP_2) | instskip(SKIP_1) | instid1(VALU_DEP_2)
	v_add_f64 v[14:15], v[14:15], v[36:37]
	v_fma_f64 v[36:37], v[41:42], vcc, v[36:37]
	v_add_f64 v[14:15], v[43:44], v[14:15]
	s_delay_alu instid0(VALU_DEP_1) | instskip(NEXT) | instid1(VALU_DEP_1)
	v_add_f64 v[14:15], v[14:15], -v[36:37]
	v_fma_f64 v[36:37], v[41:42], s[76:77], v[14:15]
	s_delay_alu instid0(VALU_DEP_1) | instskip(NEXT) | instid1(VALU_DEP_1)
	v_add_f64 v[14:15], v[45:46], v[36:37]
	v_add_f64 v[43:44], v[14:15], -v[45:46]
	s_delay_alu instid0(VALU_DEP_1)
	v_add_f64 v[36:37], v[36:37], -v[43:44]
.LBB0_81:                               ;   in Loop: Header=BB0_65 Depth=2
	s_or_b32 exec_lo, exec_lo, s14
	v_mul_f64 v[41:42], v[14:15], v[14:15]
	s_delay_alu instid0(VALU_DEP_2) | instskip(SKIP_1) | instid1(VALU_DEP_2)
	v_mul_f64 v[51:52], v[36:37], 0.5
	s_mov_b32 s18, s88
	v_mul_f64 v[43:44], v[41:42], 0.5
	v_fma_f64 v[45:46], v[41:42], s[92:93], s[90:91]
	s_delay_alu instid0(VALU_DEP_2) | instskip(NEXT) | instid1(VALU_DEP_2)
	v_add_f64 v[47:48], -v[43:44], 1.0
	v_fma_f64 v[45:46], v[41:42], v[45:46], s[94:95]
	s_delay_alu instid0(VALU_DEP_2) | instskip(NEXT) | instid1(VALU_DEP_2)
	v_add_f64 v[49:50], -v[47:48], 1.0
	v_fma_f64 v[45:46], v[41:42], v[45:46], s[96:97]
	s_delay_alu instid0(VALU_DEP_2) | instskip(SKIP_1) | instid1(VALU_DEP_3)
	v_add_f64 v[43:44], v[49:50], -v[43:44]
	v_mul_f64 v[49:50], v[14:15], -v[41:42]
	v_fma_f64 v[45:46], v[41:42], v[45:46], s[98:99]
	s_delay_alu instid0(VALU_DEP_1) | instskip(SKIP_1) | instid1(VALU_DEP_2)
	v_fma_f64 v[45:46], v[49:50], v[45:46], v[51:52]
	v_fma_f64 v[51:52], v[41:42], s[80:81], s[78:79]
	v_fma_f64 v[45:46], v[41:42], v[45:46], -v[36:37]
	s_delay_alu instid0(VALU_DEP_2) | instskip(SKIP_2) | instid1(VALU_DEP_4)
	v_fma_f64 v[51:52], v[41:42], v[51:52], s[82:83]
	v_fma_f64 v[36:37], v[14:15], -v[36:37], v[43:44]
	v_mul_f64 v[43:44], v[41:42], v[41:42]
	v_fma_f64 v[45:46], v[49:50], s[18:19], v[45:46]
	s_delay_alu instid0(VALU_DEP_4) | instskip(NEXT) | instid1(VALU_DEP_2)
	v_fma_f64 v[51:52], v[41:42], v[51:52], s[84:85]
	v_add_f64 v[14:15], v[14:15], -v[45:46]
	s_delay_alu instid0(VALU_DEP_2) | instskip(NEXT) | instid1(VALU_DEP_2)
	v_fma_f64 v[51:52], v[41:42], v[51:52], s[86:87]
	v_xor_b32_e32 v15, 0x80000000, v15
	s_delay_alu instid0(VALU_DEP_2) | instskip(NEXT) | instid1(VALU_DEP_1)
	v_fma_f64 v[41:42], v[41:42], v[51:52], s[88:89]
	v_fma_f64 v[36:37], v[43:44], v[41:42], v[36:37]
	s_delay_alu instid0(VALU_DEP_1) | instskip(SKIP_2) | instid1(VALU_DEP_2)
	v_add_f64 v[36:37], v[47:48], v[36:37]
	v_and_b32_e32 v41, 1, v31
	v_lshlrev_b32_e32 v31, 30, v31
	v_cmp_eq_u32_e32 vcc_lo, 0, v41
	s_delay_alu instid0(VALU_DEP_2) | instskip(SKIP_2) | instid1(VALU_DEP_3)
	v_dual_cndmask_b32 v14, v14, v36 :: v_dual_and_b32 v31, 0x80000000, v31
	v_cndmask_b32_e32 v15, v15, v37, vcc_lo
	v_cmp_class_f64_e64 vcc_lo, v[2:3], 0x1f8
                                        ; implicit-def: $vgpr36_vgpr37
	v_cndmask_b32_e32 v14, 0, v14, vcc_lo
	s_delay_alu instid0(VALU_DEP_3) | instskip(NEXT) | instid1(VALU_DEP_1)
	v_xor_b32_e32 v15, v15, v31
                                        ; implicit-def: $vgpr31
	v_cndmask_b32_e32 v15, 0x7ff80000, v15, vcc_lo
	scratch_store_b64 v38, v[14:15], off offset:-8
                                        ; implicit-def: $vgpr14_vgpr15
	s_and_saveexec_b32 s0, s13
	s_delay_alu instid0(SALU_CYCLE_1)
	s_xor_b32 s13, exec_lo, s0
	s_cbranch_execz .LBB0_83
; %bb.82:                               ;   in Loop: Header=BB0_65 Depth=2
	v_cmp_le_f64_e64 s0, 0x7b000000, |v[2:3]|
	s_delay_alu instid0(VALU_DEP_1) | instskip(SKIP_1) | instid1(VALU_DEP_1)
	v_cndmask_b32_e64 v13, v39, v13, s0
	v_cndmask_b32_e64 v12, v2, v12, s0
	v_mul_f64 v[14:15], v[10:11], v[12:13]
	v_mul_f64 v[36:37], v[6:7], v[12:13]
	;; [unrolled: 1-line block ×3, first 2 shown]
	s_delay_alu instid0(VALU_DEP_3) | instskip(NEXT) | instid1(VALU_DEP_3)
	v_fma_f64 v[10:11], v[10:11], v[12:13], -v[14:15]
	v_fma_f64 v[6:7], v[6:7], v[12:13], -v[36:37]
	s_delay_alu instid0(VALU_DEP_3) | instskip(NEXT) | instid1(VALU_DEP_3)
	v_fma_f64 v[8:9], v[8:9], v[12:13], -v[41:42]
	v_add_f64 v[43:44], v[36:37], v[10:11]
	s_delay_alu instid0(VALU_DEP_1) | instskip(NEXT) | instid1(VALU_DEP_1)
	v_add_f64 v[12:13], v[43:44], -v[36:37]
	v_add_f64 v[10:11], v[10:11], -v[12:13]
	;; [unrolled: 1-line block ×3, first 2 shown]
	s_delay_alu instid0(VALU_DEP_1) | instskip(SKIP_1) | instid1(VALU_DEP_2)
	v_add_f64 v[12:13], v[36:37], -v[12:13]
	v_add_f64 v[36:37], v[14:15], v[43:44]
	v_add_f64 v[10:11], v[10:11], v[12:13]
	s_delay_alu instid0(VALU_DEP_2) | instskip(SKIP_1) | instid1(VALU_DEP_2)
	v_add_f64 v[14:15], v[36:37], -v[14:15]
	v_ldexp_f64 v[36:37], v[36:37], -2
	v_add_f64 v[14:15], v[43:44], -v[14:15]
	v_add_f64 v[43:44], v[41:42], v[6:7]
	s_delay_alu instid0(VALU_DEP_3) | instskip(SKIP_1) | instid1(VALU_DEP_3)
	v_fract_f64_e32 v[12:13], v[36:37]
	v_cmp_neq_f64_e64 s0, 0x7ff00000, |v[36:37]|
	v_add_f64 v[36:37], v[43:44], -v[41:42]
	s_delay_alu instid0(VALU_DEP_2) | instskip(NEXT) | instid1(VALU_DEP_4)
	v_cndmask_b32_e64 v13, 0, v13, s0
	v_cndmask_b32_e64 v12, 0, v12, s0
	s_delay_alu instid0(VALU_DEP_1) | instskip(NEXT) | instid1(VALU_DEP_4)
	v_ldexp_f64 v[12:13], v[12:13], 2
	v_add_f64 v[6:7], v[6:7], -v[36:37]
	v_add_f64 v[36:37], v[43:44], -v[36:37]
	s_delay_alu instid0(VALU_DEP_1) | instskip(SKIP_1) | instid1(VALU_DEP_2)
	v_add_f64 v[36:37], v[41:42], -v[36:37]
	v_add_f64 v[41:42], v[43:44], v[10:11]
	v_add_f64 v[6:7], v[6:7], v[36:37]
	s_delay_alu instid0(VALU_DEP_2) | instskip(NEXT) | instid1(VALU_DEP_1)
	v_add_f64 v[36:37], v[41:42], -v[43:44]
	v_add_f64 v[10:11], v[10:11], -v[36:37]
	;; [unrolled: 1-line block ×3, first 2 shown]
	s_delay_alu instid0(VALU_DEP_1) | instskip(SKIP_1) | instid1(VALU_DEP_2)
	v_add_f64 v[36:37], v[43:44], -v[36:37]
	v_add_f64 v[43:44], v[14:15], v[41:42]
	v_add_f64 v[10:11], v[10:11], v[36:37]
	s_delay_alu instid0(VALU_DEP_2) | instskip(SKIP_1) | instid1(VALU_DEP_3)
	v_add_f64 v[45:46], v[43:44], v[12:13]
	v_add_f64 v[14:15], v[43:44], -v[14:15]
	v_add_f64 v[6:7], v[6:7], v[10:11]
	s_delay_alu instid0(VALU_DEP_3) | instskip(NEXT) | instid1(VALU_DEP_3)
	v_cmp_gt_f64_e64 s0, 0, v[45:46]
	v_add_f64 v[14:15], v[41:42], -v[14:15]
	s_delay_alu instid0(VALU_DEP_3) | instskip(NEXT) | instid1(VALU_DEP_3)
	v_add_f64 v[6:7], v[8:9], v[6:7]
	v_cndmask_b32_e64 v31, 0, 0x40100000, s0
	s_delay_alu instid0(VALU_DEP_1) | instskip(NEXT) | instid1(VALU_DEP_3)
	v_add_f64 v[12:13], v[12:13], v[30:31]
	v_add_f64 v[6:7], v[14:15], v[6:7]
	s_delay_alu instid0(VALU_DEP_2) | instskip(NEXT) | instid1(VALU_DEP_1)
	v_add_f64 v[36:37], v[43:44], v[12:13]
	v_cvt_i32_f64_e32 v39, v[36:37]
	s_delay_alu instid0(VALU_DEP_1) | instskip(NEXT) | instid1(VALU_DEP_1)
	v_cvt_f64_i32_e32 v[36:37], v39
	v_add_f64 v[12:13], v[12:13], -v[36:37]
	s_delay_alu instid0(VALU_DEP_1) | instskip(NEXT) | instid1(VALU_DEP_1)
	v_add_f64 v[10:11], v[43:44], v[12:13]
	v_add_f64 v[8:9], v[10:11], -v[12:13]
	v_cmp_le_f64_e64 s0, 0.5, v[10:11]
	s_delay_alu instid0(VALU_DEP_2) | instskip(NEXT) | instid1(VALU_DEP_2)
	v_add_f64 v[8:9], v[43:44], -v[8:9]
	v_cndmask_b32_e64 v31, 0, 0x3ff00000, s0
	s_delay_alu instid0(VALU_DEP_1) | instskip(SKIP_1) | instid1(VALU_DEP_4)
	v_add_f64 v[10:11], v[10:11], -v[30:31]
	v_add_co_ci_u32_e64 v31, s0, 0, v39, s0
	v_add_f64 v[6:7], v[6:7], v[8:9]
	s_delay_alu instid0(VALU_DEP_1) | instskip(NEXT) | instid1(VALU_DEP_1)
	v_add_f64 v[8:9], v[10:11], v[6:7]
	v_mul_f64 v[12:13], v[8:9], s[68:69]
	v_add_f64 v[10:11], v[8:9], -v[10:11]
	s_delay_alu instid0(VALU_DEP_2) | instskip(NEXT) | instid1(VALU_DEP_2)
	v_fma_f64 v[14:15], v[8:9], s[68:69], -v[12:13]
	v_add_f64 v[6:7], v[6:7], -v[10:11]
	s_delay_alu instid0(VALU_DEP_2) | instskip(NEXT) | instid1(VALU_DEP_1)
	v_fma_f64 v[8:9], v[8:9], s[6:7], v[14:15]
	v_fma_f64 v[6:7], v[6:7], s[68:69], v[8:9]
	s_delay_alu instid0(VALU_DEP_1) | instskip(NEXT) | instid1(VALU_DEP_1)
	v_add_f64 v[14:15], v[12:13], v[6:7]
	v_add_f64 v[8:9], v[14:15], -v[12:13]
	s_delay_alu instid0(VALU_DEP_1)
	v_add_f64 v[36:37], v[6:7], -v[8:9]
.LBB0_83:                               ;   in Loop: Header=BB0_65 Depth=2
	s_and_not1_saveexec_b32 s13, s13
	s_cbranch_execz .LBB0_64
; %bb.84:                               ;   in Loop: Header=BB0_65 Depth=2
	v_mul_f64 v[6:7], |v[2:3]|, s[72:73]
	s_mov_b32 s0, s68
	s_mov_b32 s70, s74
	;; [unrolled: 1-line block ×3, first 2 shown]
	s_delay_alu instid0(VALU_DEP_1) | instskip(NEXT) | instid1(VALU_DEP_1)
	v_rndne_f64_e32 v[6:7], v[6:7]
	v_fma_f64 v[8:9], v[6:7], s[0:1], |v[2:3]|
	v_mul_f64 v[10:11], v[6:7], s[74:75]
	v_cvt_i32_f64_e32 v31, v[6:7]
	s_delay_alu instid0(VALU_DEP_3) | instskip(NEXT) | instid1(VALU_DEP_3)
	v_fma_f64 v[36:37], v[6:7], s[74:75], v[8:9]
	v_add_f64 v[12:13], v[8:9], v[10:11]
	s_delay_alu instid0(VALU_DEP_1) | instskip(NEXT) | instid1(VALU_DEP_3)
	v_add_f64 v[8:9], v[8:9], -v[12:13]
	v_add_f64 v[12:13], v[12:13], -v[36:37]
	s_delay_alu instid0(VALU_DEP_2) | instskip(SKIP_1) | instid1(VALU_DEP_2)
	v_add_f64 v[8:9], v[8:9], v[10:11]
	v_fma_f64 v[10:11], v[6:7], s[70:71], v[10:11]
	v_add_f64 v[8:9], v[12:13], v[8:9]
	s_delay_alu instid0(VALU_DEP_1) | instskip(NEXT) | instid1(VALU_DEP_1)
	v_add_f64 v[8:9], v[8:9], -v[10:11]
	v_fma_f64 v[8:9], v[6:7], s[76:77], v[8:9]
	s_delay_alu instid0(VALU_DEP_1) | instskip(NEXT) | instid1(VALU_DEP_1)
	v_add_f64 v[14:15], v[36:37], v[8:9]
	v_add_f64 v[10:11], v[14:15], -v[36:37]
	s_delay_alu instid0(VALU_DEP_1)
	v_add_f64 v[36:37], v[8:9], -v[10:11]
	s_branch .LBB0_64
.LBB0_85:                               ;   in Loop: Header=BB0_34 Depth=1
	v_mad_u64_u32 v[0:1], null, v4, s11, v[5:6]
	v_cmp_eq_u32_e32 vcc_lo, v40, v5
	v_readlane_b32 s8, v106, 8
	v_readlane_b32 s9, v106, 9
	s_mov_b32 vcc_hi, exec_lo
	s_delay_alu instid0(VALU_DEP_4) | instskip(NEXT) | instid1(VALU_DEP_1)
	v_subrev_co_ci_u32_e32 v0, vcc_lo, 0, v0, vcc_lo
	v_ashrrev_i32_e32 v1, 31, v0
	s_delay_alu instid0(VALU_DEP_1) | instskip(NEXT) | instid1(VALU_DEP_1)
	v_lshlrev_b64 v[0:1], 5, v[0:1]
	v_add_co_u32 v0, vcc_lo, s8, v0
	s_delay_alu instid0(VALU_DEP_2)
	v_add_co_ci_u32_e32 v1, vcc_lo, s9, v1, vcc_lo
	s_clause 0x1
	global_load_b128 v[5:8], v[0:1], off
	global_load_b128 v[0:3], v[0:1], off offset:16
	s_waitcnt vmcnt(1)
	v_mul_f64 v[36:37], v[18:19], v[5:6]
	v_mul_f64 v[38:39], v[18:19], v[7:8]
	s_waitcnt vmcnt(0)
	v_mul_f64 v[0:1], v[18:19], v[0:1]
	v_cmpx_lt_i32_e64 v2, v3
	s_cbranch_execz .LBB0_32
; %bb.86:                               ;   in Loop: Header=BB0_34 Depth=1
	v_readlane_b32 s8, v106, 10
	s_mov_b32 s14, 0
	v_readlane_b32 s9, v106, 11
	s_delay_alu instid0(VALU_DEP_2)
	v_mul_lo_u32 v86, v4, s8
	s_branch .LBB0_88
.LBB0_87:                               ;   in Loop: Header=BB0_88 Depth=2
	s_or_b32 exec_lo, exec_lo, s33
	s_waitcnt vmcnt(2)
	v_bfe_i32 v31, v87, 0, 16
	s_waitcnt vmcnt(1)
	s_delay_alu instid0(VALU_DEP_2) | instskip(SKIP_1) | instid1(VALU_DEP_3)
	v_mul_f64 v[10:11], v[10:11], v[46:47]
	v_add_nc_u32_e32 v2, 1, v2
	v_lshl_add_u32 v31, v31, 4, 0
	s_delay_alu instid0(VALU_DEP_2) | instskip(SKIP_3) | instid1(VALU_DEP_1)
	v_cmp_ge_i32_e32 vcc_lo, v2, v3
	scratch_load_b128 v[40:43], v31, off
	s_or_b32 s14, vcc_lo, s14
	v_fma_f64 v[8:9], v[8:9], v[44:45], -v[10:11]
	v_add_f64 v[0:1], v[0:1], v[8:9]
	s_waitcnt vmcnt(0)
	v_mul_f64 v[48:49], v[44:45], v[42:43]
	v_mul_f64 v[42:43], v[46:47], v[42:43]
	s_delay_alu instid0(VALU_DEP_2) | instskip(NEXT) | instid1(VALU_DEP_2)
	v_fma_f64 v[48:49], v[46:47], v[40:41], v[48:49]
	v_fma_f64 v[40:41], v[44:45], v[40:41], -v[42:43]
	s_delay_alu instid0(VALU_DEP_2) | instskip(NEXT) | instid1(VALU_DEP_1)
	v_mul_f64 v[6:7], v[6:7], v[48:49]
	v_fma_f64 v[4:5], v[4:5], v[40:41], -v[6:7]
	v_mul_f64 v[6:7], v[14:15], v[46:47]
	s_delay_alu instid0(VALU_DEP_2) | instskip(NEXT) | instid1(VALU_DEP_2)
	v_add_f64 v[36:37], v[36:37], v[4:5]
	v_fma_f64 v[6:7], v[12:13], v[44:45], -v[6:7]
	s_delay_alu instid0(VALU_DEP_1)
	v_add_f64 v[38:39], v[38:39], v[6:7]
	s_and_not1_b32 exec_lo, exec_lo, s14
	s_cbranch_execz .LBB0_31
.LBB0_88:                               ;   Parent Loop BB0_34 Depth=1
                                        ; =>  This Loop Header: Depth=2
                                        ;       Child Loop BB0_100 Depth 3
	s_delay_alu instid0(VALU_DEP_1) | instskip(NEXT) | instid1(VALU_DEP_1)
	v_add_nc_u32_e32 v4, v2, v86
	v_mad_i64_i32 v[12:13], null, 0x48, v4, s[26:27]
	s_clause 0x1
	global_load_b128 v[8:11], v[12:13], off
	global_load_b128 v[4:7], v[12:13], off offset:16
	s_waitcnt vmcnt(1)
	v_add_f64 v[10:11], -v[10:11], 0
	v_add_f64 v[8:9], v[18:19], -v[8:9]
	s_delay_alu instid0(VALU_DEP_2) | instskip(SKIP_1) | instid1(VALU_DEP_2)
	v_mul_f64 v[14:15], v[10:11], 0.5
	v_mul_f64 v[10:11], v[10:11], 0
	v_fma_f64 v[42:43], v[8:9], 0, v[14:15]
	s_delay_alu instid0(VALU_DEP_2) | instskip(NEXT) | instid1(VALU_DEP_2)
	v_fma_f64 v[40:41], v[8:9], 0.5, -v[10:11]
	v_mul_f64 v[8:9], v[42:43], v[42:43]
	s_delay_alu instid0(VALU_DEP_1) | instskip(NEXT) | instid1(VALU_DEP_1)
	v_fma_f64 v[10:11], v[40:41], v[40:41], v[8:9]
	v_cmp_gt_f64_e32 vcc_lo, 0x10000000, v[10:11]
	v_cndmask_b32_e64 v14, 0, 1, vcc_lo
	v_cndmask_b32_e64 v31, 0, 0xffffff80, vcc_lo
	s_delay_alu instid0(VALU_DEP_2) | instskip(NEXT) | instid1(VALU_DEP_1)
	v_lshlrev_b32_e32 v14, 8, v14
	v_ldexp_f64 v[10:11], v[10:11], v14
	s_delay_alu instid0(VALU_DEP_1) | instskip(SKIP_4) | instid1(VALU_DEP_1)
	v_rsq_f64_e32 v[14:15], v[10:11]
	v_cmp_class_f64_e64 vcc_lo, v[10:11], 0x260
	s_waitcnt_depctr 0xfff
	v_mul_f64 v[44:45], v[10:11], v[14:15]
	v_mul_f64 v[14:15], v[14:15], 0.5
	v_fma_f64 v[46:47], -v[14:15], v[44:45], 0.5
	s_delay_alu instid0(VALU_DEP_1) | instskip(SKIP_1) | instid1(VALU_DEP_2)
	v_fma_f64 v[44:45], v[44:45], v[46:47], v[44:45]
	v_fma_f64 v[14:15], v[14:15], v[46:47], v[14:15]
	v_fma_f64 v[46:47], -v[44:45], v[44:45], v[10:11]
	s_delay_alu instid0(VALU_DEP_1) | instskip(NEXT) | instid1(VALU_DEP_1)
	v_fma_f64 v[44:45], v[46:47], v[14:15], v[44:45]
	v_fma_f64 v[46:47], -v[44:45], v[44:45], v[10:11]
	s_delay_alu instid0(VALU_DEP_1) | instskip(NEXT) | instid1(VALU_DEP_1)
	v_fma_f64 v[14:15], v[46:47], v[14:15], v[44:45]
                                        ; implicit-def: $vgpr46_vgpr47
                                        ; implicit-def: $vgpr44_vgpr45
	v_ldexp_f64 v[14:15], v[14:15], v31
	s_delay_alu instid0(VALU_DEP_1) | instskip(SKIP_1) | instid1(VALU_DEP_2)
	v_dual_cndmask_b32 v11, v15, v11 :: v_dual_cndmask_b32 v10, v14, v10
	v_mul_f64 v[14:15], v[40:41], v[40:41]
	v_cmp_ngt_f64_e32 vcc_lo, 0x40180000, v[10:11]
	s_delay_alu instid0(VALU_DEP_2) | instskip(SKIP_1) | instid1(VALU_DEP_1)
	v_add_f64 v[50:51], v[14:15], -v[8:9]
	v_mul_f64 v[8:9], v[40:41], v[42:43]
	v_add_f64 v[48:49], v[8:9], v[8:9]
	s_clause 0x2
	global_load_u16 v87, v[12:13], off offset:64
	global_load_b128 v[8:11], v[12:13], off offset:48
	global_load_b128 v[12:15], v[12:13], off offset:32
	s_and_saveexec_b32 s0, vcc_lo
	s_delay_alu instid0(SALU_CYCLE_1)
	s_xor_b32 s0, exec_lo, s0
	s_cbranch_execz .LBB0_90
; %bb.89:                               ;   in Loop: Header=BB0_88 Depth=2
	v_add_f64 v[44:45], v[50:51], s[28:29]
	v_mul_f64 v[46:47], v[48:49], v[48:49]
	v_mul_f64 v[52:53], v[48:49], 0
	s_mov_b32 s8, 0xa049097
	s_mov_b32 s9, 0xc005cc47
	s_delay_alu instid0(SALU_CYCLE_1) | instskip(NEXT) | instid1(VALU_DEP_3)
	v_add_f64 v[50:51], v[50:51], s[8:9]
	v_fma_f64 v[54:55], v[44:45], v[44:45], v[46:47]
	s_delay_alu instid0(VALU_DEP_3) | instskip(NEXT) | instid1(VALU_DEP_3)
	v_fma_f64 v[56:57], v[44:45], s[30:31], v[52:53]
	v_fma_f64 v[46:47], v[50:51], v[50:51], v[46:47]
	;; [unrolled: 1-line block ×3, first 2 shown]
	s_delay_alu instid0(VALU_DEP_3) | instskip(NEXT) | instid1(VALU_DEP_1)
	v_div_scale_f64 v[58:59], null, v[54:55], v[54:55], v[56:57]
	v_rcp_f64_e32 v[60:61], v[58:59]
	s_waitcnt_depctr 0xfff
	v_fma_f64 v[62:63], -v[58:59], v[60:61], 1.0
	s_delay_alu instid0(VALU_DEP_1) | instskip(NEXT) | instid1(VALU_DEP_1)
	v_fma_f64 v[60:61], v[60:61], v[62:63], v[60:61]
	v_fma_f64 v[62:63], -v[58:59], v[60:61], 1.0
	s_delay_alu instid0(VALU_DEP_1) | instskip(SKIP_1) | instid1(VALU_DEP_1)
	v_fma_f64 v[60:61], v[60:61], v[62:63], v[60:61]
	v_div_scale_f64 v[62:63], vcc_lo, v[56:57], v[54:55], v[56:57]
	v_mul_f64 v[64:65], v[62:63], v[60:61]
	s_delay_alu instid0(VALU_DEP_1) | instskip(NEXT) | instid1(VALU_DEP_1)
	v_fma_f64 v[58:59], -v[58:59], v[64:65], v[62:63]
	v_div_fmas_f64 v[58:59], v[58:59], v[60:61], v[64:65]
	v_mul_f64 v[60:61], v[48:49], s[30:31]
	v_mul_f64 v[48:49], v[48:49], s[20:21]
	s_delay_alu instid0(VALU_DEP_2) | instskip(NEXT) | instid1(VALU_DEP_2)
	v_fma_f64 v[44:45], v[44:45], 0, -v[60:61]
	v_fma_f64 v[48:49], v[50:51], 0, -v[48:49]
	s_delay_alu instid0(VALU_DEP_2) | instskip(NEXT) | instid1(VALU_DEP_2)
	v_div_scale_f64 v[60:61], null, v[54:55], v[54:55], v[44:45]
	v_div_scale_f64 v[50:51], null, v[46:47], v[46:47], v[48:49]
	s_delay_alu instid0(VALU_DEP_2) | instskip(SKIP_2) | instid1(VALU_DEP_1)
	v_rcp_f64_e32 v[62:63], v[60:61]
	s_waitcnt_depctr 0xfff
	v_fma_f64 v[64:65], -v[60:61], v[62:63], 1.0
	v_fma_f64 v[62:63], v[62:63], v[64:65], v[62:63]
	s_delay_alu instid0(VALU_DEP_1) | instskip(NEXT) | instid1(VALU_DEP_1)
	v_fma_f64 v[64:65], -v[60:61], v[62:63], 1.0
	v_fma_f64 v[62:63], v[62:63], v[64:65], v[62:63]
	v_div_scale_f64 v[64:65], vcc_lo, v[44:45], v[54:55], v[44:45]
	s_delay_alu instid0(VALU_DEP_1) | instskip(NEXT) | instid1(VALU_DEP_1)
	v_mul_f64 v[66:67], v[64:65], v[62:63]
	v_fma_f64 v[60:61], -v[60:61], v[66:67], v[64:65]
	s_delay_alu instid0(VALU_DEP_1) | instskip(SKIP_1) | instid1(VALU_DEP_2)
	v_div_fmas_f64 v[60:61], v[60:61], v[62:63], v[66:67]
	v_div_scale_f64 v[62:63], null, v[46:47], v[46:47], v[52:53]
	v_div_fixup_f64 v[44:45], v[60:61], v[54:55], v[44:45]
	s_delay_alu instid0(VALU_DEP_2) | instskip(SKIP_2) | instid1(VALU_DEP_1)
	v_rcp_f64_e32 v[64:65], v[62:63]
	s_waitcnt_depctr 0xfff
	v_fma_f64 v[66:67], -v[62:63], v[64:65], 1.0
	v_fma_f64 v[64:65], v[64:65], v[66:67], v[64:65]
	s_delay_alu instid0(VALU_DEP_1) | instskip(NEXT) | instid1(VALU_DEP_1)
	v_fma_f64 v[66:67], -v[62:63], v[64:65], 1.0
	v_fma_f64 v[64:65], v[64:65], v[66:67], v[64:65]
	v_div_scale_f64 v[66:67], vcc_lo, v[52:53], v[46:47], v[52:53]
	s_delay_alu instid0(VALU_DEP_1) | instskip(NEXT) | instid1(VALU_DEP_1)
	v_mul_f64 v[68:69], v[66:67], v[64:65]
	v_fma_f64 v[62:63], -v[62:63], v[68:69], v[66:67]
	s_delay_alu instid0(VALU_DEP_1) | instskip(SKIP_3) | instid1(VALU_DEP_1)
	v_div_fmas_f64 v[62:63], v[62:63], v[64:65], v[68:69]
	v_rcp_f64_e32 v[64:65], v[50:51]
	s_waitcnt_depctr 0xfff
	v_fma_f64 v[66:67], -v[50:51], v[64:65], 1.0
	v_fma_f64 v[64:65], v[64:65], v[66:67], v[64:65]
	s_delay_alu instid0(VALU_DEP_1) | instskip(NEXT) | instid1(VALU_DEP_1)
	v_fma_f64 v[66:67], -v[50:51], v[64:65], 1.0
	v_fma_f64 v[64:65], v[64:65], v[66:67], v[64:65]
	v_div_scale_f64 v[66:67], vcc_lo, v[48:49], v[46:47], v[48:49]
	s_delay_alu instid0(VALU_DEP_1) | instskip(NEXT) | instid1(VALU_DEP_1)
	v_mul_f64 v[68:69], v[66:67], v[64:65]
	v_fma_f64 v[50:51], -v[50:51], v[68:69], v[66:67]
	s_delay_alu instid0(VALU_DEP_1) | instskip(NEXT) | instid1(VALU_DEP_1)
	v_div_fmas_f64 v[50:51], v[50:51], v[64:65], v[68:69]
	v_div_fixup_f64 v[48:49], v[50:51], v[46:47], v[48:49]
	v_div_fixup_f64 v[50:51], v[58:59], v[54:55], v[56:57]
	v_fma_f64 v[54:55], v[42:43], 0, v[40:41]
	v_div_fixup_f64 v[46:47], v[62:63], v[46:47], v[52:53]
	v_fma_f64 v[40:41], v[40:41], 0, -v[42:43]
	v_add_f64 v[44:45], v[44:45], v[48:49]
	s_delay_alu instid0(VALU_DEP_3) | instskip(NEXT) | instid1(VALU_DEP_2)
	v_add_f64 v[42:43], v[50:51], v[46:47]
                                        ; implicit-def: $vgpr50_vgpr51
	v_mul_f64 v[46:47], v[54:55], v[44:45]
	s_delay_alu instid0(VALU_DEP_4) | instskip(NEXT) | instid1(VALU_DEP_2)
	v_mul_f64 v[48:49], v[40:41], v[44:45]
	v_fma_f64 v[44:45], v[40:41], v[42:43], -v[46:47]
	s_delay_alu instid0(VALU_DEP_2)
	v_fma_f64 v[46:47], v[54:55], v[42:43], v[48:49]
                                        ; implicit-def: $vgpr42_vgpr43
                                        ; implicit-def: $vgpr40_vgpr41
                                        ; implicit-def: $vgpr48_vgpr49
.LBB0_90:                               ;   in Loop: Header=BB0_88 Depth=2
	s_and_not1_saveexec_b32 s33, s0
	s_cbranch_execz .LBB0_87
; %bb.91:                               ;   in Loop: Header=BB0_88 Depth=2
	v_mul_f64 v[44:45], v[42:43], 0
                                        ; implicit-def: $vgpr88
                                        ; implicit-def: $vgpr52_vgpr53
                                        ; implicit-def: $vgpr54_vgpr55
	s_delay_alu instid0(VALU_DEP_1) | instskip(NEXT) | instid1(VALU_DEP_1)
	v_fma_f64 v[46:47], 0x40280000, v[40:41], v[44:45]
	v_cmp_gt_f64_e64 vcc_lo, 0x41d00000, |v[46:47]|
	v_cmp_ngt_f64_e64 s12, 0x41d00000, |v[46:47]|
	v_trig_preop_f64 v[64:65], |v[46:47]|, 0
	v_trig_preop_f64 v[62:63], |v[46:47]|, 1
	v_ldexp_f64 v[66:67], |v[46:47]|, 0xffffff80
	v_trig_preop_f64 v[60:61], |v[46:47]|, 2
	v_and_b32_e32 v72, 0x7fffffff, v47
	s_and_saveexec_b32 s0, s12
	s_delay_alu instid0(SALU_CYCLE_1)
	s_xor_b32 s13, exec_lo, s0
	s_cbranch_execz .LBB0_93
; %bb.92:                               ;   in Loop: Header=BB0_88 Depth=2
	v_ldexp_f64 v[52:53], |v[46:47]|, 0xffffff80
	v_cmp_le_f64_e64 s0, 0x7b000000, |v[46:47]|
	v_trig_preop_f64 v[54:55], |v[46:47]|, 0
	v_trig_preop_f64 v[56:57], |v[46:47]|, 1
	;; [unrolled: 1-line block ×3, first 2 shown]
	s_delay_alu instid0(VALU_DEP_4) | instskip(SKIP_1) | instid1(VALU_DEP_1)
	v_cndmask_b32_e64 v53, v72, v53, s0
	v_cndmask_b32_e64 v52, v46, v52, s0
	v_mul_f64 v[68:69], v[54:55], v[52:53]
	v_mul_f64 v[70:71], v[56:57], v[52:53]
	;; [unrolled: 1-line block ×3, first 2 shown]
	s_delay_alu instid0(VALU_DEP_3) | instskip(NEXT) | instid1(VALU_DEP_3)
	v_fma_f64 v[54:55], v[54:55], v[52:53], -v[68:69]
	v_fma_f64 v[56:57], v[56:57], v[52:53], -v[70:71]
	s_delay_alu instid0(VALU_DEP_3) | instskip(NEXT) | instid1(VALU_DEP_3)
	v_fma_f64 v[52:53], v[58:59], v[52:53], -v[73:74]
	v_add_f64 v[58:59], v[70:71], v[54:55]
	s_delay_alu instid0(VALU_DEP_1) | instskip(NEXT) | instid1(VALU_DEP_1)
	v_add_f64 v[75:76], v[58:59], -v[70:71]
	v_add_f64 v[54:55], v[54:55], -v[75:76]
	;; [unrolled: 1-line block ×3, first 2 shown]
	s_delay_alu instid0(VALU_DEP_1) | instskip(SKIP_1) | instid1(VALU_DEP_2)
	v_add_f64 v[70:71], v[70:71], -v[75:76]
	v_add_f64 v[75:76], v[73:74], v[56:57]
	v_add_f64 v[54:55], v[54:55], v[70:71]
	s_delay_alu instid0(VALU_DEP_2) | instskip(SKIP_1) | instid1(VALU_DEP_2)
	v_add_f64 v[77:78], v[75:76], -v[73:74]
	v_add_f64 v[70:71], v[68:69], v[58:59]
	v_add_f64 v[56:57], v[56:57], -v[77:78]
	v_add_f64 v[77:78], v[75:76], -v[77:78]
	s_delay_alu instid0(VALU_DEP_3) | instskip(SKIP_1) | instid1(VALU_DEP_3)
	v_add_f64 v[68:69], v[70:71], -v[68:69]
	v_ldexp_f64 v[70:71], v[70:71], -2
	v_add_f64 v[73:74], v[73:74], -v[77:78]
	s_delay_alu instid0(VALU_DEP_3) | instskip(NEXT) | instid1(VALU_DEP_3)
	v_add_f64 v[58:59], v[58:59], -v[68:69]
	v_fract_f64_e32 v[77:78], v[70:71]
	v_cmp_neq_f64_e64 s0, 0x7ff00000, |v[70:71]|
	v_add_f64 v[70:71], v[75:76], v[54:55]
	v_add_f64 v[56:57], v[56:57], v[73:74]
	s_delay_alu instid0(VALU_DEP_3) | instskip(NEXT) | instid1(VALU_DEP_3)
	v_cndmask_b32_e64 v69, 0, v78, s0
	v_add_f64 v[79:80], v[70:71], -v[75:76]
	v_cndmask_b32_e64 v68, 0, v77, s0
	v_add_f64 v[73:74], v[58:59], v[70:71]
	s_delay_alu instid0(VALU_DEP_2) | instskip(NEXT) | instid1(VALU_DEP_4)
	v_ldexp_f64 v[68:69], v[68:69], 2
	v_add_f64 v[54:55], v[54:55], -v[79:80]
	v_add_f64 v[79:80], v[70:71], -v[79:80]
	s_delay_alu instid0(VALU_DEP_4) | instskip(NEXT) | instid1(VALU_DEP_2)
	v_add_f64 v[58:59], v[73:74], -v[58:59]
	v_add_f64 v[75:76], v[75:76], -v[79:80]
	s_delay_alu instid0(VALU_DEP_2) | instskip(NEXT) | instid1(VALU_DEP_2)
	v_add_f64 v[58:59], v[70:71], -v[58:59]
	v_add_f64 v[54:55], v[54:55], v[75:76]
	v_add_f64 v[75:76], v[73:74], v[68:69]
	s_delay_alu instid0(VALU_DEP_2) | instskip(NEXT) | instid1(VALU_DEP_2)
	v_add_f64 v[54:55], v[56:57], v[54:55]
	v_cmp_gt_f64_e64 s0, 0, v[75:76]
	s_delay_alu instid0(VALU_DEP_2) | instskip(NEXT) | instid1(VALU_DEP_2)
	v_add_f64 v[52:53], v[52:53], v[54:55]
	v_cndmask_b32_e64 v31, 0, 0x40100000, s0
	s_delay_alu instid0(VALU_DEP_1) | instskip(NEXT) | instid1(VALU_DEP_3)
	v_add_f64 v[68:69], v[68:69], v[30:31]
	v_add_f64 v[52:53], v[58:59], v[52:53]
	s_delay_alu instid0(VALU_DEP_2) | instskip(NEXT) | instid1(VALU_DEP_1)
	v_add_f64 v[75:76], v[73:74], v[68:69]
	v_cvt_i32_f64_e32 v77, v[75:76]
	s_delay_alu instid0(VALU_DEP_1) | instskip(NEXT) | instid1(VALU_DEP_1)
	v_cvt_f64_i32_e32 v[75:76], v77
	v_add_f64 v[68:69], v[68:69], -v[75:76]
	s_delay_alu instid0(VALU_DEP_1) | instskip(NEXT) | instid1(VALU_DEP_1)
	v_add_f64 v[56:57], v[73:74], v[68:69]
	v_add_f64 v[54:55], v[56:57], -v[68:69]
	v_cmp_le_f64_e64 s0, 0.5, v[56:57]
	s_delay_alu instid0(VALU_DEP_2) | instskip(NEXT) | instid1(VALU_DEP_2)
	v_add_f64 v[54:55], v[73:74], -v[54:55]
	v_cndmask_b32_e64 v31, 0, 0x3ff00000, s0
	v_add_co_ci_u32_e64 v88, s0, 0, v77, s0
	s_delay_alu instid0(VALU_DEP_2) | instskip(NEXT) | instid1(VALU_DEP_4)
	v_add_f64 v[56:57], v[56:57], -v[30:31]
	v_add_f64 v[52:53], v[52:53], v[54:55]
	s_delay_alu instid0(VALU_DEP_1) | instskip(NEXT) | instid1(VALU_DEP_1)
	v_add_f64 v[54:55], v[56:57], v[52:53]
	v_mul_f64 v[58:59], v[54:55], s[68:69]
	v_add_f64 v[56:57], v[54:55], -v[56:57]
	s_delay_alu instid0(VALU_DEP_2) | instskip(NEXT) | instid1(VALU_DEP_2)
	v_fma_f64 v[68:69], v[54:55], s[68:69], -v[58:59]
	v_add_f64 v[52:53], v[52:53], -v[56:57]
	s_delay_alu instid0(VALU_DEP_2) | instskip(NEXT) | instid1(VALU_DEP_1)
	v_fma_f64 v[54:55], v[54:55], s[6:7], v[68:69]
	v_fma_f64 v[54:55], v[52:53], s[68:69], v[54:55]
	s_delay_alu instid0(VALU_DEP_1) | instskip(NEXT) | instid1(VALU_DEP_1)
	v_add_f64 v[52:53], v[58:59], v[54:55]
	v_add_f64 v[56:57], v[52:53], -v[58:59]
	s_delay_alu instid0(VALU_DEP_1)
	v_add_f64 v[54:55], v[54:55], -v[56:57]
	s_and_not1_saveexec_b32 s13, s13
	s_cbranch_execz .LBB0_95
	s_branch .LBB0_94
.LBB0_93:                               ;   in Loop: Header=BB0_88 Depth=2
	s_and_not1_saveexec_b32 s13, s13
	s_cbranch_execz .LBB0_95
.LBB0_94:                               ;   in Loop: Header=BB0_88 Depth=2
	v_mul_f64 v[52:53], |v[46:47]|, s[72:73]
	s_mov_b32 s0, s68
	s_mov_b32 s8, s74
	;; [unrolled: 1-line block ×3, first 2 shown]
	s_delay_alu instid0(VALU_DEP_1) | instskip(NEXT) | instid1(VALU_DEP_1)
	v_rndne_f64_e32 v[56:57], v[52:53]
	v_fma_f64 v[52:53], v[56:57], s[0:1], |v[46:47]|
	v_mul_f64 v[54:55], v[56:57], s[74:75]
	v_cvt_i32_f64_e32 v88, v[56:57]
	s_delay_alu instid0(VALU_DEP_3) | instskip(NEXT) | instid1(VALU_DEP_3)
	v_fma_f64 v[68:69], v[56:57], s[74:75], v[52:53]
	v_add_f64 v[58:59], v[52:53], v[54:55]
	s_delay_alu instid0(VALU_DEP_1) | instskip(NEXT) | instid1(VALU_DEP_3)
	v_add_f64 v[52:53], v[52:53], -v[58:59]
	v_add_f64 v[58:59], v[58:59], -v[68:69]
	s_delay_alu instid0(VALU_DEP_2) | instskip(SKIP_1) | instid1(VALU_DEP_2)
	v_add_f64 v[52:53], v[52:53], v[54:55]
	v_fma_f64 v[54:55], v[56:57], s[8:9], v[54:55]
	v_add_f64 v[52:53], v[58:59], v[52:53]
	s_delay_alu instid0(VALU_DEP_1) | instskip(NEXT) | instid1(VALU_DEP_1)
	v_add_f64 v[52:53], v[52:53], -v[54:55]
	v_fma_f64 v[54:55], v[56:57], s[76:77], v[52:53]
	s_delay_alu instid0(VALU_DEP_1) | instskip(NEXT) | instid1(VALU_DEP_1)
	v_add_f64 v[52:53], v[68:69], v[54:55]
	v_add_f64 v[58:59], v[52:53], -v[68:69]
	s_delay_alu instid0(VALU_DEP_1)
	v_add_f64 v[54:55], v[54:55], -v[58:59]
.LBB0_95:                               ;   in Loop: Header=BB0_88 Depth=2
	s_or_b32 exec_lo, exec_lo, s13
                                        ; implicit-def: $vgpr89
                                        ; implicit-def: $vgpr56_vgpr57
                                        ; implicit-def: $vgpr58_vgpr59
                                        ; implicit-def: $vgpr70_vgpr71
                                        ; implicit-def: $vgpr68_vgpr69
                                        ; implicit-def: $vgpr73
	s_and_saveexec_b32 s0, s12
	s_delay_alu instid0(SALU_CYCLE_1)
	s_xor_b32 s12, exec_lo, s0
	s_cbranch_execz .LBB0_97
; %bb.96:                               ;   in Loop: Header=BB0_88 Depth=2
	v_ldexp_f64 v[66:67], |v[46:47]|, 0xffffff80
	v_cmp_le_f64_e64 s0, 0x7b000000, |v[46:47]|
	v_trig_preop_f64 v[64:65], |v[46:47]|, 0
	v_trig_preop_f64 v[62:63], |v[46:47]|, 1
	s_mov_b32 s8, s74
	s_mov_b32 s9, s7
	s_delay_alu instid0(VALU_DEP_3) | instskip(SKIP_1) | instid1(VALU_DEP_1)
	v_cndmask_b32_e64 v57, v72, v67, s0
	v_cndmask_b32_e64 v56, v46, v66, s0
	v_mul_f64 v[58:59], v[64:65], v[56:57]
	s_delay_alu instid0(VALU_DEP_4) | instskip(NEXT) | instid1(VALU_DEP_2)
	v_mul_f64 v[60:61], v[62:63], v[56:57]
	v_fma_f64 v[68:69], v[64:65], v[56:57], -v[58:59]
	s_delay_alu instid0(VALU_DEP_1) | instskip(NEXT) | instid1(VALU_DEP_1)
	v_add_f64 v[70:71], v[60:61], v[68:69]
	v_add_f64 v[73:74], v[70:71], -v[60:61]
	s_delay_alu instid0(VALU_DEP_1) | instskip(SKIP_1) | instid1(VALU_DEP_1)
	v_add_f64 v[68:69], v[68:69], -v[73:74]
	v_add_f64 v[73:74], v[70:71], -v[73:74]
	;; [unrolled: 1-line block ×3, first 2 shown]
	s_delay_alu instid0(VALU_DEP_1) | instskip(SKIP_2) | instid1(VALU_DEP_1)
	v_add_f64 v[68:69], v[68:69], v[73:74]
	v_fma_f64 v[73:74], v[62:63], v[56:57], -v[60:61]
	v_trig_preop_f64 v[60:61], |v[46:47]|, 2
	v_mul_f64 v[75:76], v[60:61], v[56:57]
	s_delay_alu instid0(VALU_DEP_1) | instskip(SKIP_1) | instid1(VALU_DEP_2)
	v_add_f64 v[77:78], v[75:76], v[73:74]
	v_fma_f64 v[56:57], v[60:61], v[56:57], -v[75:76]
	v_add_f64 v[79:80], v[77:78], -v[75:76]
	s_delay_alu instid0(VALU_DEP_1) | instskip(SKIP_1) | instid1(VALU_DEP_1)
	v_add_f64 v[73:74], v[73:74], -v[79:80]
	v_add_f64 v[79:80], v[77:78], -v[79:80]
	;; [unrolled: 1-line block ×3, first 2 shown]
	s_delay_alu instid0(VALU_DEP_1) | instskip(SKIP_1) | instid1(VALU_DEP_1)
	v_add_f64 v[73:74], v[73:74], v[79:80]
	v_add_f64 v[79:80], v[77:78], v[68:69]
	v_add_f64 v[89:90], v[79:80], -v[77:78]
	s_delay_alu instid0(VALU_DEP_1) | instskip(SKIP_1) | instid1(VALU_DEP_1)
	v_add_f64 v[68:69], v[68:69], -v[89:90]
	v_add_f64 v[89:90], v[79:80], -v[89:90]
	;; [unrolled: 1-line block ×3, first 2 shown]
	v_add_f64 v[89:90], v[58:59], v[70:71]
	s_delay_alu instid0(VALU_DEP_2) | instskip(NEXT) | instid1(VALU_DEP_2)
	v_add_f64 v[68:69], v[68:69], v[77:78]
	v_add_f64 v[58:59], v[89:90], -v[58:59]
	v_ldexp_f64 v[89:90], v[89:90], -2
	s_delay_alu instid0(VALU_DEP_3) | instskip(NEXT) | instid1(VALU_DEP_3)
	v_add_f64 v[68:69], v[73:74], v[68:69]
	v_add_f64 v[58:59], v[70:71], -v[58:59]
	s_delay_alu instid0(VALU_DEP_3) | instskip(SKIP_1) | instid1(VALU_DEP_4)
	v_fract_f64_e32 v[91:92], v[89:90]
	v_cmp_neq_f64_e64 s0, 0x7ff00000, |v[89:90]|
	v_add_f64 v[56:57], v[56:57], v[68:69]
	s_delay_alu instid0(VALU_DEP_4) | instskip(NEXT) | instid1(VALU_DEP_3)
	v_add_f64 v[73:74], v[58:59], v[79:80]
	v_cndmask_b32_e64 v71, 0, v92, s0
	v_cndmask_b32_e64 v70, 0, v91, s0
	s_delay_alu instid0(VALU_DEP_1) | instskip(NEXT) | instid1(VALU_DEP_4)
	v_ldexp_f64 v[68:69], v[70:71], 2
	v_add_f64 v[58:59], v[73:74], -v[58:59]
	s_delay_alu instid0(VALU_DEP_2) | instskip(NEXT) | instid1(VALU_DEP_2)
	v_add_f64 v[70:71], v[73:74], v[68:69]
	v_add_f64 v[58:59], v[79:80], -v[58:59]
	s_delay_alu instid0(VALU_DEP_2) | instskip(NEXT) | instid1(VALU_DEP_2)
	v_cmp_gt_f64_e64 s0, 0, v[70:71]
	v_add_f64 v[56:57], v[58:59], v[56:57]
	s_delay_alu instid0(VALU_DEP_2) | instskip(SKIP_1) | instid1(VALU_DEP_1)
	v_cndmask_b32_e64 v31, 0, 0x40100000, s0
	s_mov_b32 s0, s68
	v_add_f64 v[68:69], v[68:69], v[30:31]
	s_delay_alu instid0(VALU_DEP_1) | instskip(NEXT) | instid1(VALU_DEP_1)
	v_add_f64 v[70:71], v[73:74], v[68:69]
	v_cvt_i32_f64_e32 v81, v[70:71]
	s_delay_alu instid0(VALU_DEP_1) | instskip(NEXT) | instid1(VALU_DEP_1)
	v_cvt_f64_i32_e32 v[70:71], v81
	v_add_f64 v[68:69], v[68:69], -v[70:71]
	v_mul_f64 v[70:71], |v[46:47]|, s[72:73]
	s_delay_alu instid0(VALU_DEP_2) | instskip(NEXT) | instid1(VALU_DEP_1)
	v_add_f64 v[58:59], v[73:74], v[68:69]
	v_add_f64 v[68:69], v[58:59], -v[68:69]
	s_delay_alu instid0(VALU_DEP_1) | instskip(NEXT) | instid1(VALU_DEP_4)
	v_add_f64 v[68:69], v[73:74], -v[68:69]
	v_rndne_f64_e32 v[73:74], v[70:71]
	s_delay_alu instid0(VALU_DEP_2) | instskip(NEXT) | instid1(VALU_DEP_2)
	v_add_f64 v[56:57], v[56:57], v[68:69]
	v_fma_f64 v[70:71], v[73:74], s[0:1], |v[46:47]|
	v_cmp_le_f64_e64 s0, 0.5, v[58:59]
	v_mul_f64 v[75:76], v[73:74], s[74:75]
	s_delay_alu instid0(VALU_DEP_3) | instskip(NEXT) | instid1(VALU_DEP_3)
	v_fma_f64 v[79:80], v[73:74], s[74:75], v[70:71]
	v_cndmask_b32_e64 v31, 0, 0x3ff00000, s0
	s_delay_alu instid0(VALU_DEP_3) | instskip(SKIP_1) | instid1(VALU_DEP_3)
	v_add_f64 v[77:78], v[70:71], v[75:76]
	v_add_co_ci_u32_e64 v89, s0, 0, v81, s0
	v_add_f64 v[58:59], v[58:59], -v[30:31]
	s_delay_alu instid0(VALU_DEP_3) | instskip(SKIP_1) | instid1(VALU_DEP_3)
	v_add_f64 v[70:71], v[70:71], -v[77:78]
	v_add_f64 v[77:78], v[77:78], -v[79:80]
	v_add_f64 v[68:69], v[58:59], v[56:57]
	s_delay_alu instid0(VALU_DEP_3) | instskip(SKIP_1) | instid1(VALU_DEP_3)
	v_add_f64 v[70:71], v[70:71], v[75:76]
	v_fma_f64 v[75:76], v[73:74], s[8:9], v[75:76]
	v_add_f64 v[58:59], v[68:69], -v[58:59]
	s_delay_alu instid0(VALU_DEP_3) | instskip(NEXT) | instid1(VALU_DEP_2)
	v_add_f64 v[70:71], v[77:78], v[70:71]
	v_add_f64 v[56:57], v[56:57], -v[58:59]
	v_mul_f64 v[58:59], v[68:69], s[68:69]
	s_delay_alu instid0(VALU_DEP_3) | instskip(NEXT) | instid1(VALU_DEP_2)
	v_add_f64 v[70:71], v[70:71], -v[75:76]
	v_fma_f64 v[77:78], v[68:69], s[68:69], -v[58:59]
	s_delay_alu instid0(VALU_DEP_1) | instskip(NEXT) | instid1(VALU_DEP_1)
	v_fma_f64 v[68:69], v[68:69], s[6:7], v[77:78]
	v_fma_f64 v[75:76], v[56:57], s[68:69], v[68:69]
	s_delay_alu instid0(VALU_DEP_4) | instskip(SKIP_1) | instid1(VALU_DEP_2)
	v_fma_f64 v[56:57], v[73:74], s[76:77], v[70:71]
	v_cvt_i32_f64_e32 v73, v[73:74]
	v_add_f64 v[70:71], v[79:80], v[56:57]
	s_delay_alu instid0(VALU_DEP_1) | instskip(NEXT) | instid1(VALU_DEP_1)
	v_add_f64 v[68:69], v[70:71], -v[79:80]
	v_add_f64 v[68:69], v[56:57], -v[68:69]
	v_add_f64 v[56:57], v[58:59], v[75:76]
	s_delay_alu instid0(VALU_DEP_1) | instskip(NEXT) | instid1(VALU_DEP_1)
	v_add_f64 v[58:59], v[56:57], -v[58:59]
	v_add_f64 v[58:59], v[75:76], -v[58:59]
	s_and_not1_saveexec_b32 s12, s12
	s_cbranch_execnz .LBB0_98
	s_branch .LBB0_99
.LBB0_97:                               ;   in Loop: Header=BB0_88 Depth=2
	s_and_not1_saveexec_b32 s12, s12
	s_cbranch_execz .LBB0_99
.LBB0_98:                               ;   in Loop: Header=BB0_88 Depth=2
	v_mul_f64 v[56:57], |v[46:47]|, s[72:73]
	s_mov_b32 s0, s68
	s_mov_b32 s8, s74
	;; [unrolled: 1-line block ×3, first 2 shown]
	s_delay_alu instid0(VALU_DEP_1) | instskip(NEXT) | instid1(VALU_DEP_1)
	v_rndne_f64_e32 v[56:57], v[56:57]
	v_fma_f64 v[58:59], v[56:57], s[0:1], |v[46:47]|
	v_mul_f64 v[68:69], v[56:57], s[74:75]
	s_delay_alu instid0(VALU_DEP_2) | instskip(NEXT) | instid1(VALU_DEP_2)
	v_fma_f64 v[73:74], v[56:57], s[74:75], v[58:59]
	v_add_f64 v[70:71], v[58:59], v[68:69]
	s_delay_alu instid0(VALU_DEP_1) | instskip(NEXT) | instid1(VALU_DEP_3)
	v_add_f64 v[58:59], v[58:59], -v[70:71]
	v_add_f64 v[70:71], v[70:71], -v[73:74]
	s_delay_alu instid0(VALU_DEP_2) | instskip(SKIP_1) | instid1(VALU_DEP_2)
	v_add_f64 v[58:59], v[58:59], v[68:69]
	v_fma_f64 v[68:69], v[56:57], s[8:9], v[68:69]
	v_add_f64 v[58:59], v[70:71], v[58:59]
	s_delay_alu instid0(VALU_DEP_1) | instskip(NEXT) | instid1(VALU_DEP_1)
	v_add_f64 v[58:59], v[58:59], -v[68:69]
	v_fma_f64 v[58:59], v[56:57], s[76:77], v[58:59]
	s_delay_alu instid0(VALU_DEP_1) | instskip(NEXT) | instid1(VALU_DEP_1)
	v_add_f64 v[70:71], v[73:74], v[58:59]
	v_add_f64 v[68:69], v[70:71], -v[73:74]
	v_cvt_i32_f64_e32 v73, v[56:57]
	v_dual_mov_b32 v56, v70 :: v_dual_mov_b32 v57, v71
	s_delay_alu instid0(VALU_DEP_3) | instskip(NEXT) | instid1(VALU_DEP_1)
	v_add_f64 v[68:69], v[58:59], -v[68:69]
	v_dual_mov_b32 v89, v73 :: v_dual_mov_b32 v58, v68
	s_delay_alu instid0(VALU_DEP_2)
	v_mov_b32_e32 v59, v69
.LBB0_99:                               ;   in Loop: Header=BB0_88 Depth=2
	s_or_b32 exec_lo, exec_lo, s12
	v_cmp_le_f64_e64 s0, 0x7b000000, |v[46:47]|
	s_mov_b32 s18, s88
	s_mov_b64 s[12:13], 0
	s_delay_alu instid0(VALU_DEP_1) | instskip(SKIP_1) | instid1(VALU_DEP_1)
	v_cndmask_b32_e64 v67, v72, v67, s0
	v_cndmask_b32_e64 v66, v46, v66, s0
	v_mul_f64 v[74:75], v[66:67], v[64:65]
	v_mul_f64 v[76:77], v[62:63], v[66:67]
	;; [unrolled: 1-line block ×3, first 2 shown]
	s_delay_alu instid0(VALU_DEP_3) | instskip(NEXT) | instid1(VALU_DEP_3)
	v_fma_f64 v[64:65], v[64:65], v[66:67], -v[74:75]
	v_fma_f64 v[62:63], v[62:63], v[66:67], -v[76:77]
	s_delay_alu instid0(VALU_DEP_3) | instskip(NEXT) | instid1(VALU_DEP_3)
	v_fma_f64 v[60:61], v[60:61], v[66:67], -v[78:79]
	v_add_f64 v[66:67], v[76:77], v[64:65]
	s_delay_alu instid0(VALU_DEP_1) | instskip(NEXT) | instid1(VALU_DEP_1)
	v_add_f64 v[80:81], v[66:67], -v[76:77]
	v_add_f64 v[64:65], v[64:65], -v[80:81]
	;; [unrolled: 1-line block ×3, first 2 shown]
	s_delay_alu instid0(VALU_DEP_1) | instskip(SKIP_1) | instid1(VALU_DEP_2)
	v_add_f64 v[76:77], v[76:77], -v[80:81]
	v_add_f64 v[80:81], v[78:79], v[62:63]
	v_add_f64 v[64:65], v[64:65], v[76:77]
	s_delay_alu instid0(VALU_DEP_2) | instskip(NEXT) | instid1(VALU_DEP_2)
	v_add_f64 v[90:91], v[80:81], -v[78:79]
	v_add_f64 v[76:77], v[80:81], v[64:65]
	s_delay_alu instid0(VALU_DEP_2) | instskip(SKIP_1) | instid1(VALU_DEP_1)
	v_add_f64 v[62:63], v[62:63], -v[90:91]
	v_add_f64 v[90:91], v[80:81], -v[90:91]
	;; [unrolled: 1-line block ×3, first 2 shown]
	s_delay_alu instid0(VALU_DEP_1) | instskip(SKIP_1) | instid1(VALU_DEP_1)
	v_add_f64 v[62:63], v[62:63], v[78:79]
	v_add_f64 v[78:79], v[76:77], -v[80:81]
	v_add_f64 v[64:65], v[64:65], -v[78:79]
	;; [unrolled: 1-line block ×3, first 2 shown]
	s_delay_alu instid0(VALU_DEP_1) | instskip(SKIP_1) | instid1(VALU_DEP_2)
	v_add_f64 v[78:79], v[80:81], -v[78:79]
	v_add_f64 v[80:81], v[74:75], v[66:67]
	v_add_f64 v[64:65], v[64:65], v[78:79]
	s_delay_alu instid0(VALU_DEP_2) | instskip(SKIP_1) | instid1(VALU_DEP_3)
	v_add_f64 v[74:75], v[80:81], -v[74:75]
	v_ldexp_f64 v[80:81], v[80:81], -2
	v_add_f64 v[62:63], v[62:63], v[64:65]
	s_delay_alu instid0(VALU_DEP_3) | instskip(NEXT) | instid1(VALU_DEP_3)
	v_add_f64 v[66:67], v[66:67], -v[74:75]
	v_fract_f64_e32 v[90:91], v[80:81]
	v_cmp_neq_f64_e64 s0, 0x7ff00000, |v[80:81]|
	s_delay_alu instid0(VALU_DEP_4) | instskip(NEXT) | instid1(VALU_DEP_4)
	v_add_f64 v[60:61], v[60:61], v[62:63]
	v_add_f64 v[64:65], v[66:67], v[76:77]
	s_delay_alu instid0(VALU_DEP_3) | instskip(SKIP_1) | instid1(VALU_DEP_1)
	v_cndmask_b32_e64 v75, 0, v91, s0
	v_cndmask_b32_e64 v74, 0, v90, s0
	v_ldexp_f64 v[62:63], v[74:75], 2
	s_delay_alu instid0(VALU_DEP_4) | instskip(NEXT) | instid1(VALU_DEP_2)
	v_add_f64 v[66:67], v[64:65], -v[66:67]
	v_add_f64 v[74:75], v[64:65], v[62:63]
	s_delay_alu instid0(VALU_DEP_2) | instskip(NEXT) | instid1(VALU_DEP_2)
	v_add_f64 v[66:67], v[76:77], -v[66:67]
	v_cmp_gt_f64_e64 s0, 0, v[74:75]
	s_delay_alu instid0(VALU_DEP_2) | instskip(NEXT) | instid1(VALU_DEP_2)
	v_add_f64 v[60:61], v[66:67], v[60:61]
	v_cndmask_b32_e64 v31, 0, 0x40100000, s0
	s_delay_alu instid0(VALU_DEP_1) | instskip(NEXT) | instid1(VALU_DEP_1)
	v_add_f64 v[62:63], v[62:63], v[30:31]
	v_add_f64 v[74:75], v[64:65], v[62:63]
	s_delay_alu instid0(VALU_DEP_1) | instskip(NEXT) | instid1(VALU_DEP_1)
	v_cvt_i32_f64_e32 v72, v[74:75]
	v_cvt_f64_i32_e32 v[74:75], v72
	s_delay_alu instid0(VALU_DEP_1) | instskip(NEXT) | instid1(VALU_DEP_1)
	v_add_f64 v[62:63], v[62:63], -v[74:75]
	v_add_f64 v[66:67], v[64:65], v[62:63]
	s_delay_alu instid0(VALU_DEP_1) | instskip(SKIP_1) | instid1(VALU_DEP_2)
	v_add_f64 v[62:63], v[66:67], -v[62:63]
	v_cmp_le_f64_e64 s0, 0.5, v[66:67]
	v_add_f64 v[62:63], v[64:65], -v[62:63]
	s_delay_alu instid0(VALU_DEP_2) | instskip(NEXT) | instid1(VALU_DEP_2)
	v_cndmask_b32_e64 v31, 0, 0x3ff00000, s0
	v_add_f64 v[60:61], v[60:61], v[62:63]
	s_delay_alu instid0(VALU_DEP_2) | instskip(SKIP_2) | instid1(VALU_DEP_3)
	v_add_f64 v[62:63], v[66:67], -v[30:31]
	v_add_co_ci_u32_e64 v31, s0, 0, v72, s0
	v_cmp_class_f64_e64 s0, v[46:47], 0x1f8
	v_add_f64 v[64:65], v[62:63], v[60:61]
	s_delay_alu instid0(VALU_DEP_1) | instskip(NEXT) | instid1(VALU_DEP_1)
	v_add_f64 v[62:63], v[64:65], -v[62:63]
	v_add_f64 v[60:61], v[60:61], -v[62:63]
	v_mul_f64 v[62:63], v[64:65], s[68:69]
	s_delay_alu instid0(VALU_DEP_1) | instskip(NEXT) | instid1(VALU_DEP_1)
	v_fma_f64 v[66:67], v[64:65], s[68:69], -v[62:63]
	v_fma_f64 v[64:65], v[64:65], s[6:7], v[66:67]
	s_delay_alu instid0(VALU_DEP_1) | instskip(NEXT) | instid1(VALU_DEP_1)
	v_fma_f64 v[60:61], v[60:61], s[68:69], v[64:65]
	v_add_f64 v[64:65], v[62:63], v[60:61]
	s_delay_alu instid0(VALU_DEP_1) | instskip(SKIP_1) | instid1(VALU_DEP_2)
	v_add_f64 v[62:63], v[64:65], -v[62:63]
	v_dual_cndmask_b32 v67, v65, v71 :: v_dual_cndmask_b32 v66, v64, v70
	v_add_f64 v[60:61], v[60:61], -v[62:63]
	s_delay_alu instid0(VALU_DEP_2) | instskip(NEXT) | instid1(VALU_DEP_2)
	v_mul_f64 v[62:63], v[66:67], v[66:67]
	v_dual_cndmask_b32 v61, v61, v69 :: v_dual_cndmask_b32 v60, v60, v68
	s_delay_alu instid0(VALU_DEP_2) | instskip(SKIP_1) | instid1(VALU_DEP_3)
	v_mul_f64 v[64:65], v[62:63], 0.5
	v_mul_f64 v[74:75], v[66:67], -v[62:63]
	v_mul_f64 v[76:77], v[60:61], 0.5
	s_delay_alu instid0(VALU_DEP_3) | instskip(NEXT) | instid1(VALU_DEP_1)
	v_add_f64 v[68:69], -v[64:65], 1.0
	v_add_f64 v[70:71], -v[68:69], 1.0
	s_delay_alu instid0(VALU_DEP_1) | instskip(SKIP_1) | instid1(VALU_DEP_2)
	v_add_f64 v[64:65], v[70:71], -v[64:65]
	v_fma_f64 v[70:71], v[62:63], s[92:93], s[90:91]
	v_fma_f64 v[64:65], v[66:67], -v[60:61], v[64:65]
	s_delay_alu instid0(VALU_DEP_2) | instskip(NEXT) | instid1(VALU_DEP_1)
	v_fma_f64 v[70:71], v[62:63], v[70:71], s[94:95]
	v_fma_f64 v[70:71], v[62:63], v[70:71], s[96:97]
	s_delay_alu instid0(VALU_DEP_1) | instskip(NEXT) | instid1(VALU_DEP_1)
	v_fma_f64 v[70:71], v[62:63], v[70:71], s[98:99]
	v_fma_f64 v[70:71], v[74:75], v[70:71], v[76:77]
	s_delay_alu instid0(VALU_DEP_1) | instskip(SKIP_1) | instid1(VALU_DEP_2)
	v_fma_f64 v[60:61], v[62:63], v[70:71], -v[60:61]
	v_fma_f64 v[70:71], v[62:63], s[80:81], s[78:79]
	v_fma_f64 v[60:61], v[74:75], s[18:19], v[60:61]
	s_delay_alu instid0(VALU_DEP_2) | instskip(NEXT) | instid1(VALU_DEP_2)
	v_fma_f64 v[70:71], v[62:63], v[70:71], s[82:83]
	v_add_f64 v[60:61], v[66:67], -v[60:61]
	s_delay_alu instid0(VALU_DEP_2) | instskip(NEXT) | instid1(VALU_DEP_1)
	v_fma_f64 v[70:71], v[62:63], v[70:71], s[84:85]
	v_fma_f64 v[70:71], v[62:63], v[70:71], s[86:87]
	s_delay_alu instid0(VALU_DEP_1) | instskip(SKIP_1) | instid1(VALU_DEP_1)
	v_fma_f64 v[70:71], v[62:63], v[70:71], s[88:89]
	v_mul_f64 v[62:63], v[62:63], v[62:63]
	v_fma_f64 v[62:63], v[62:63], v[70:71], v[64:65]
	s_delay_alu instid0(VALU_DEP_1) | instskip(SKIP_1) | instid1(VALU_DEP_1)
	v_add_f64 v[62:63], v[68:69], v[62:63]
	v_cndmask_b32_e32 v31, v31, v73, vcc_lo
	v_and_b32_e32 v64, 1, v31
	s_delay_alu instid0(VALU_DEP_1) | instskip(SKIP_3) | instid1(VALU_DEP_3)
	v_cmp_eq_u32_e32 vcc_lo, 0, v64
	v_xor_b32_e32 v64, 0x80000000, v61
	v_dual_cndmask_b32 v65, v60, v62 :: v_dual_cndmask_b32 v66, v62, v60
	v_lshlrev_b32_e32 v31, 30, v31
	v_dual_cndmask_b32 v61, v63, v61 :: v_dual_cndmask_b32 v64, v64, v63
	v_mul_f64 v[62:63], 0x40620000, v[48:49]
	v_mul_f64 v[48:49], v[48:49], 0
	s_delay_alu instid0(VALU_DEP_4) | instskip(SKIP_1) | instid1(VALU_DEP_2)
	v_xor_b32_e32 v60, v31, v47
	v_and_b32_e32 v31, 0x80000000, v31
	v_and_b32_e32 v60, 0x80000000, v60
	s_delay_alu instid0(VALU_DEP_2) | instskip(NEXT) | instid1(VALU_DEP_2)
	v_xor_b32_e32 v31, v64, v31
	v_xor_b32_e32 v46, v61, v60
	v_mul_f64 v[60:61], 0x40280000, v[42:43]
	v_fma_f64 v[62:63], v[50:51], 0, v[62:63]
	v_fma_f64 v[68:69], 0x40620000, v[50:51], -v[48:49]
	v_cndmask_b32_e64 v50, 0, v65, s0
	v_cndmask_b32_e64 v48, 0, v66, s0
	;; [unrolled: 1-line block ×4, first 2 shown]
	v_fma_f64 v[64:65], v[40:41], 0, -v[60:61]
	v_add_f64 v[74:75], -v[62:63], 0
	v_mul_f64 v[62:63], 0x40280000, v[40:41]
	s_delay_alu instid0(VALU_DEP_3) | instskip(NEXT) | instid1(VALU_DEP_3)
	v_fma_f64 v[64:65], 0x3f300000, v[64:65], 1.0
	v_mul_f64 v[76:77], v[74:75], v[74:75]
	s_delay_alu instid0(VALU_DEP_2) | instskip(NEXT) | instid1(VALU_DEP_1)
	v_mul_f64 v[64:65], v[64:65], v[64:65]
	v_mul_f64 v[64:65], v[64:65], v[64:65]
	s_delay_alu instid0(VALU_DEP_1) | instskip(NEXT) | instid1(VALU_DEP_1)
	v_mul_f64 v[64:65], v[64:65], v[64:65]
	v_mul_f64 v[64:65], v[64:65], v[64:65]
	s_delay_alu instid0(VALU_DEP_1) | instskip(NEXT) | instid1(VALU_DEP_1)
	;; [unrolled: 3-line block ×5, first 2 shown]
	v_mul_f64 v[64:65], v[64:65], v[64:65]
	v_mul_f64 v[64:65], v[64:65], v[64:65]
	s_delay_alu instid0(VALU_DEP_1) | instskip(SKIP_1) | instid1(VALU_DEP_2)
	v_mul_f64 v[66:67], v[64:65], v[48:49]
	v_mul_f64 v[48:49], v[48:49], 0
	v_fma_f64 v[70:71], v[50:51], 0, v[66:67]
	s_delay_alu instid0(VALU_DEP_2) | instskip(SKIP_3) | instid1(VALU_DEP_1)
	v_fma_f64 v[72:73], v[64:65], v[50:51], -v[48:49]
	v_mul_f64 v[66:67], v[40:41], 0
	v_mov_b32_e32 v48, 0
	v_mov_b32_e32 v49, 0
	v_dual_mov_b32 v51, v49 :: v_dual_mov_b32 v50, v48
	v_mul_f64 v[78:79], v[70:71], 0
	v_mul_f64 v[80:81], v[72:73], 0
.LBB0_100:                              ;   Parent Loop BB0_34 Depth=1
                                        ;     Parent Loop BB0_88 Depth=2
                                        ; =>    This Inner Loop Header: Depth=3
	s_getpc_b64 s[8:9]
	s_add_u32 s8, s8, __const._Z14fast_nuclear_W9RSComplex.neg_1n@rel32@lo+4
	s_addc_u32 s9, s9, __const._Z14fast_nuclear_W9RSComplex.neg_1n@rel32@hi+12
	s_add_u32 s8, s12, s8
	s_addc_u32 s9, s13, s9
	s_getpc_b64 s[10:11]
	s_add_u32 s10, s10, __const._Z14fast_nuclear_W9RSComplex.denominator_left@rel32@lo+4
	s_addc_u32 s11, s11, __const._Z14fast_nuclear_W9RSComplex.denominator_left@rel32@hi+12
	s_load_b64 s[8:9], s[8:9], 0x0
	s_add_u32 s10, s12, s10
	s_addc_u32 s11, s13, s11
	s_load_b64 s[10:11], s[10:11], 0x0
	s_waitcnt lgkmcnt(0)
	s_delay_alu instid0(VALU_DEP_2) | instskip(NEXT) | instid1(VALU_DEP_2)
	v_fma_f64 v[90:91], v[72:73], s[8:9], -v[78:79]
	v_fma_f64 v[96:97], v[70:71], s[8:9], v[80:81]
	s_getpc_b64 s[8:9]
	s_add_u32 s8, s8, __const._Z14fast_nuclear_W9RSComplex.an@rel32@lo+4
	s_addc_u32 s9, s9, __const._Z14fast_nuclear_W9RSComplex.an@rel32@hi+12
	s_add_u32 s8, s12, s8
	v_add_f64 v[92:93], s[10:11], -v[68:69]
	s_addc_u32 s9, s13, s9
	s_add_u32 s12, s12, 8
	s_load_b64 s[8:9], s[8:9], 0x0
	s_addc_u32 s13, s13, 0
	s_cmpk_eq_i32 s12, 0x50
	s_delay_alu instid0(VALU_DEP_3) | instskip(NEXT) | instid1(VALU_DEP_1)
	v_add_f64 v[90:91], v[90:91], -1.0
	v_mul_f64 v[94:95], v[92:93], v[90:91]
	v_mul_f64 v[90:91], v[74:75], v[90:91]
	s_delay_alu instid0(VALU_DEP_2) | instskip(NEXT) | instid1(VALU_DEP_2)
	v_fma_f64 v[94:95], v[74:75], v[96:97], v[94:95]
	v_fma_f64 v[90:91], v[92:93], v[96:97], -v[90:91]
	v_fma_f64 v[92:93], v[92:93], v[92:93], v[76:77]
	s_delay_alu instid0(VALU_DEP_1) | instskip(NEXT) | instid1(VALU_DEP_1)
	v_div_scale_f64 v[96:97], null, v[92:93], v[92:93], v[94:95]
	v_rcp_f64_e32 v[98:99], v[96:97]
	s_waitcnt_depctr 0xfff
	v_fma_f64 v[100:101], -v[96:97], v[98:99], 1.0
	s_delay_alu instid0(VALU_DEP_1) | instskip(NEXT) | instid1(VALU_DEP_1)
	v_fma_f64 v[98:99], v[98:99], v[100:101], v[98:99]
	v_fma_f64 v[100:101], -v[96:97], v[98:99], 1.0
	s_delay_alu instid0(VALU_DEP_1) | instskip(SKIP_1) | instid1(VALU_DEP_1)
	v_fma_f64 v[98:99], v[98:99], v[100:101], v[98:99]
	v_div_scale_f64 v[100:101], vcc_lo, v[94:95], v[92:93], v[94:95]
	v_mul_f64 v[102:103], v[100:101], v[98:99]
	s_delay_alu instid0(VALU_DEP_1) | instskip(NEXT) | instid1(VALU_DEP_1)
	v_fma_f64 v[96:97], -v[96:97], v[102:103], v[100:101]
	v_div_fmas_f64 v[96:97], v[96:97], v[98:99], v[102:103]
	v_div_scale_f64 v[98:99], null, v[92:93], v[92:93], v[90:91]
	s_delay_alu instid0(VALU_DEP_1) | instskip(SKIP_2) | instid1(VALU_DEP_1)
	v_rcp_f64_e32 v[100:101], v[98:99]
	s_waitcnt_depctr 0xfff
	v_fma_f64 v[102:103], -v[98:99], v[100:101], 1.0
	v_fma_f64 v[100:101], v[100:101], v[102:103], v[100:101]
	s_delay_alu instid0(VALU_DEP_1) | instskip(NEXT) | instid1(VALU_DEP_1)
	v_fma_f64 v[102:103], -v[98:99], v[100:101], 1.0
	v_fma_f64 v[100:101], v[100:101], v[102:103], v[100:101]
	v_div_scale_f64 v[102:103], vcc_lo, v[90:91], v[92:93], v[90:91]
	s_delay_alu instid0(VALU_DEP_1) | instskip(NEXT) | instid1(VALU_DEP_1)
	v_mul_f64 v[104:105], v[102:103], v[100:101]
	v_fma_f64 v[98:99], -v[98:99], v[104:105], v[102:103]
	s_delay_alu instid0(VALU_DEP_1) | instskip(NEXT) | instid1(VALU_DEP_1)
	v_div_fmas_f64 v[98:99], v[98:99], v[100:101], v[104:105]
	v_div_fixup_f64 v[90:91], v[98:99], v[92:93], v[90:91]
	v_div_fixup_f64 v[92:93], v[96:97], v[92:93], v[94:95]
	s_delay_alu instid0(VALU_DEP_2) | instskip(SKIP_2) | instid1(VALU_DEP_2)
	v_mul_f64 v[94:95], v[90:91], 0
	s_waitcnt lgkmcnt(0)
	v_mul_f64 v[90:91], s[8:9], v[90:91]
	v_fma_f64 v[94:95], s[8:9], v[92:93], -v[94:95]
	s_delay_alu instid0(VALU_DEP_2) | instskip(NEXT) | instid1(VALU_DEP_2)
	v_fma_f64 v[90:91], v[92:93], 0, v[90:91]
	v_add_f64 v[48:49], v[48:49], v[94:95]
	s_delay_alu instid0(VALU_DEP_2)
	v_add_f64 v[50:51], v[50:51], v[90:91]
	s_cbranch_scc0 .LBB0_100
; %bb.101:                              ;   in Loop: Header=BB0_88 Depth=2
	v_mul_f64 v[68:69], v[52:53], v[52:53]
	v_mul_f64 v[76:77], v[54:55], 0.5
	v_mul_f64 v[90:91], v[58:59], 0.5
	s_mov_b32 s18, s88
	v_add_f64 v[44:45], v[62:63], -v[44:45]
	s_delay_alu instid0(VALU_DEP_4) | instskip(SKIP_1) | instid1(VALU_DEP_2)
	v_mul_f64 v[70:71], v[68:69], 0.5
	v_mul_f64 v[78:79], v[52:53], -v[68:69]
	v_add_f64 v[72:73], -v[70:71], 1.0
	s_delay_alu instid0(VALU_DEP_1) | instskip(NEXT) | instid1(VALU_DEP_1)
	v_add_f64 v[74:75], -v[72:73], 1.0
	v_add_f64 v[70:71], v[74:75], -v[70:71]
	v_fma_f64 v[74:75], v[68:69], s[92:93], s[90:91]
	s_delay_alu instid0(VALU_DEP_2) | instskip(NEXT) | instid1(VALU_DEP_2)
	v_fma_f64 v[70:71], v[52:53], -v[54:55], v[70:71]
	v_fma_f64 v[74:75], v[68:69], v[74:75], s[94:95]
	s_delay_alu instid0(VALU_DEP_1) | instskip(NEXT) | instid1(VALU_DEP_1)
	v_fma_f64 v[74:75], v[68:69], v[74:75], s[96:97]
	v_fma_f64 v[74:75], v[68:69], v[74:75], s[98:99]
	s_delay_alu instid0(VALU_DEP_1) | instskip(NEXT) | instid1(VALU_DEP_1)
	v_fma_f64 v[74:75], v[78:79], v[74:75], v[76:77]
	v_fma_f64 v[54:55], v[68:69], v[74:75], -v[54:55]
	v_fma_f64 v[74:75], v[68:69], s[80:81], s[78:79]
	s_delay_alu instid0(VALU_DEP_2) | instskip(NEXT) | instid1(VALU_DEP_2)
	v_fma_f64 v[54:55], v[78:79], s[18:19], v[54:55]
	v_fma_f64 v[74:75], v[68:69], v[74:75], s[82:83]
	s_delay_alu instid0(VALU_DEP_2) | instskip(NEXT) | instid1(VALU_DEP_2)
	v_add_f64 v[52:53], v[52:53], -v[54:55]
	v_fma_f64 v[74:75], v[68:69], v[74:75], s[84:85]
	s_delay_alu instid0(VALU_DEP_2) | instskip(NEXT) | instid1(VALU_DEP_2)
	v_xor_b32_e32 v53, 0x80000000, v53
	v_fma_f64 v[74:75], v[68:69], v[74:75], s[86:87]
	s_delay_alu instid0(VALU_DEP_1) | instskip(SKIP_1) | instid1(VALU_DEP_1)
	v_fma_f64 v[74:75], v[68:69], v[74:75], s[88:89]
	v_mul_f64 v[68:69], v[68:69], v[68:69]
	v_fma_f64 v[68:69], v[68:69], v[74:75], v[70:71]
	v_mul_f64 v[70:71], v[56:57], v[56:57]
	s_delay_alu instid0(VALU_DEP_2) | instskip(NEXT) | instid1(VALU_DEP_2)
	v_add_f64 v[54:55], v[72:73], v[68:69]
	v_mul_f64 v[74:75], v[70:71], 0.5
	v_mul_f64 v[92:93], v[56:57], -v[70:71]
	v_and_b32_e32 v31, 1, v89
	s_delay_alu instid0(VALU_DEP_1) | instskip(NEXT) | instid1(VALU_DEP_4)
	v_cmp_eq_u32_e32 vcc_lo, 0, v31
	v_add_f64 v[76:77], -v[74:75], 1.0
	s_delay_alu instid0(VALU_DEP_1) | instskip(NEXT) | instid1(VALU_DEP_1)
	v_add_f64 v[80:81], -v[76:77], 1.0
	v_add_f64 v[74:75], v[80:81], -v[74:75]
	v_fma_f64 v[80:81], v[70:71], s[92:93], s[90:91]
	s_delay_alu instid0(VALU_DEP_2) | instskip(NEXT) | instid1(VALU_DEP_2)
	v_fma_f64 v[74:75], v[56:57], -v[58:59], v[74:75]
	v_fma_f64 v[80:81], v[70:71], v[80:81], s[94:95]
	s_delay_alu instid0(VALU_DEP_1) | instskip(NEXT) | instid1(VALU_DEP_1)
	v_fma_f64 v[80:81], v[70:71], v[80:81], s[96:97]
	v_fma_f64 v[80:81], v[70:71], v[80:81], s[98:99]
	s_delay_alu instid0(VALU_DEP_1) | instskip(NEXT) | instid1(VALU_DEP_1)
	v_fma_f64 v[80:81], v[92:93], v[80:81], v[90:91]
	v_fma_f64 v[58:59], v[70:71], v[80:81], -v[58:59]
	v_fma_f64 v[80:81], v[70:71], s[80:81], s[78:79]
	s_delay_alu instid0(VALU_DEP_2) | instskip(NEXT) | instid1(VALU_DEP_2)
	v_fma_f64 v[58:59], v[92:93], s[18:19], v[58:59]
	v_fma_f64 v[80:81], v[70:71], v[80:81], s[82:83]
	s_delay_alu instid0(VALU_DEP_2) | instskip(NEXT) | instid1(VALU_DEP_2)
	v_add_f64 v[56:57], v[56:57], -v[58:59]
	v_fma_f64 v[80:81], v[70:71], v[80:81], s[84:85]
	s_delay_alu instid0(VALU_DEP_1) | instskip(NEXT) | instid1(VALU_DEP_1)
	v_fma_f64 v[80:81], v[70:71], v[80:81], s[86:87]
	v_fma_f64 v[80:81], v[70:71], v[80:81], s[88:89]
	v_mul_f64 v[70:71], v[70:71], v[70:71]
	s_delay_alu instid0(VALU_DEP_1) | instskip(NEXT) | instid1(VALU_DEP_1)
	v_fma_f64 v[70:71], v[70:71], v[80:81], v[74:75]
	v_add_f64 v[70:71], v[76:77], v[70:71]
	s_delay_alu instid0(VALU_DEP_1) | instskip(SKIP_1) | instid1(VALU_DEP_1)
	v_dual_cndmask_b32 v31, v70, v56 :: v_dual_cndmask_b32 v46, v71, v57
	v_lshlrev_b32_e32 v56, 30, v89
	v_xor_b32_e32 v47, v56, v47
	v_and_b32_e32 v56, 1, v88
	s_delay_alu instid0(VALU_DEP_2) | instskip(NEXT) | instid1(VALU_DEP_2)
	v_and_b32_e32 v47, 0x80000000, v47
	v_cmp_eq_u32_e32 vcc_lo, 0, v56
	s_delay_alu instid0(VALU_DEP_2) | instskip(SKIP_2) | instid1(VALU_DEP_3)
	v_xor_b32_e32 v47, v46, v47
	v_dual_cndmask_b32 v53, v53, v55 :: v_dual_lshlrev_b32 v46, 30, v88
	v_cndmask_b32_e32 v52, v52, v54, vcc_lo
	v_cndmask_b32_e64 v47, 0x7ff80000, v47, s0
	s_delay_alu instid0(VALU_DEP_3) | instskip(NEXT) | instid1(VALU_DEP_3)
	v_and_b32_e32 v46, 0x80000000, v46
	v_cndmask_b32_e64 v52, 0, v52, s0
	s_delay_alu instid0(VALU_DEP_2) | instskip(SKIP_1) | instid1(VALU_DEP_2)
	v_xor_b32_e32 v53, v53, v46
	v_cndmask_b32_e64 v46, 0, v31, s0
	v_cndmask_b32_e64 v53, 0x7ff80000, v53, s0
	s_delay_alu instid0(VALU_DEP_2) | instskip(NEXT) | instid1(VALU_DEP_2)
	v_mul_f64 v[54:55], v[64:65], v[46:47]
	v_mul_f64 v[56:57], v[64:65], v[52:53]
	s_delay_alu instid0(VALU_DEP_2) | instskip(SKIP_1) | instid1(VALU_DEP_3)
	v_fma_f64 v[52:53], v[52:53], 0, v[54:55]
	v_add_f64 v[54:55], v[66:67], v[60:61]
	v_fma_f64 v[46:47], v[46:47], 0, -v[56:57]
	s_delay_alu instid0(VALU_DEP_3) | instskip(NEXT) | instid1(VALU_DEP_3)
	v_add_f64 v[52:53], -v[52:53], 0
	v_mul_f64 v[58:59], v[54:55], v[54:55]
	s_delay_alu instid0(VALU_DEP_3) | instskip(NEXT) | instid1(VALU_DEP_2)
	v_add_f64 v[46:47], v[46:47], 1.0
	v_fma_f64 v[58:59], v[44:45], v[44:45], v[58:59]
	s_delay_alu instid0(VALU_DEP_2) | instskip(SKIP_1) | instid1(VALU_DEP_2)
	v_fma_f64 v[56:57], v[52:53], 0, v[46:47]
	v_fma_f64 v[46:47], v[46:47], 0, -v[52:53]
	v_mul_f64 v[52:53], v[54:55], v[56:57]
	s_delay_alu instid0(VALU_DEP_1) | instskip(SKIP_1) | instid1(VALU_DEP_2)
	v_fma_f64 v[52:53], v[44:45], v[46:47], v[52:53]
	v_mul_f64 v[46:47], v[54:55], v[46:47]
	v_div_scale_f64 v[54:55], null, v[58:59], v[58:59], v[52:53]
	s_delay_alu instid0(VALU_DEP_2) | instskip(NEXT) | instid1(VALU_DEP_2)
	v_fma_f64 v[44:45], v[44:45], v[56:57], -v[46:47]
	v_rcp_f64_e32 v[46:47], v[54:55]
	s_waitcnt_depctr 0xfff
	v_fma_f64 v[56:57], -v[54:55], v[46:47], 1.0
	s_delay_alu instid0(VALU_DEP_1) | instskip(SKIP_2) | instid1(VALU_DEP_2)
	v_fma_f64 v[46:47], v[46:47], v[56:57], v[46:47]
	v_mul_f64 v[56:57], v[42:43], v[48:49]
	v_mul_f64 v[42:43], v[42:43], v[50:51]
	v_fma_f64 v[50:51], v[40:41], v[50:51], v[56:57]
	s_delay_alu instid0(VALU_DEP_4) | instskip(NEXT) | instid1(VALU_DEP_3)
	v_fma_f64 v[56:57], -v[54:55], v[46:47], 1.0
	v_fma_f64 v[40:41], v[40:41], v[48:49], -v[42:43]
	v_div_scale_f64 v[48:49], null, v[58:59], v[58:59], v[44:45]
	s_delay_alu instid0(VALU_DEP_3) | instskip(SKIP_1) | instid1(VALU_DEP_1)
	v_fma_f64 v[46:47], v[46:47], v[56:57], v[46:47]
	v_div_scale_f64 v[56:57], vcc_lo, v[52:53], v[58:59], v[52:53]
	v_mul_f64 v[42:43], v[56:57], v[46:47]
	s_delay_alu instid0(VALU_DEP_1) | instskip(SKIP_1) | instid1(VALU_DEP_1)
	v_fma_f64 v[54:55], -v[54:55], v[42:43], v[56:57]
	v_rcp_f64_e32 v[56:57], v[48:49]
	v_div_fmas_f64 v[42:43], v[54:55], v[46:47], v[42:43]
	v_div_scale_f64 v[54:55], vcc_lo, v[44:45], v[58:59], v[44:45]
	s_waitcnt_depctr 0xfff
	v_fma_f64 v[60:61], -v[48:49], v[56:57], 1.0
	v_div_fixup_f64 v[42:43], v[42:43], v[58:59], v[52:53]
	s_delay_alu instid0(VALU_DEP_2) | instskip(NEXT) | instid1(VALU_DEP_1)
	v_fma_f64 v[56:57], v[56:57], v[60:61], v[56:57]
	v_fma_f64 v[46:47], -v[48:49], v[56:57], 1.0
	s_delay_alu instid0(VALU_DEP_1) | instskip(NEXT) | instid1(VALU_DEP_1)
	v_fma_f64 v[46:47], v[56:57], v[46:47], v[56:57]
	v_mul_f64 v[56:57], v[54:55], v[46:47]
	s_delay_alu instid0(VALU_DEP_1) | instskip(SKIP_1) | instid1(VALU_DEP_2)
	v_fma_f64 v[48:49], -v[48:49], v[56:57], v[54:55]
	v_mul_f64 v[54:55], v[50:51], s[16:17]
	v_div_fmas_f64 v[46:47], v[48:49], v[46:47], v[56:57]
	v_mul_f64 v[48:49], v[50:51], 0
	s_delay_alu instid0(VALU_DEP_3) | instskip(NEXT) | instid1(VALU_DEP_3)
	v_fma_f64 v[50:51], v[40:41], 0, -v[54:55]
	v_div_fixup_f64 v[46:47], v[46:47], v[58:59], v[44:45]
	s_delay_alu instid0(VALU_DEP_3) | instskip(NEXT) | instid1(VALU_DEP_3)
	v_fma_f64 v[40:41], v[40:41], s[16:17], v[48:49]
	v_add_f64 v[44:45], v[42:43], v[50:51]
	s_delay_alu instid0(VALU_DEP_2)
	v_add_f64 v[46:47], v[46:47], v[40:41]
	s_branch .LBB0_87
.LBB0_102:
	s_or_b32 exec_lo, exec_lo, s102
	s_mov_b64 s[30:31], s[14:15]
.LBB0_103:
	s_or_b32 exec_lo, exec_lo, s103
	s_delay_alu instid0(VALU_DEP_2)
	v_max_f64 v[0:1], v[28:29], v[28:29]
	s_mov_b32 s0, -1
	s_mov_b32 s1, 0xffefffff
	s_delay_alu instid0(VALU_DEP_1) | instid1(SALU_CYCLE_1)
	v_max_f64 v[0:1], v[0:1], s[0:1]
	s_delay_alu instid0(VALU_DEP_1) | instskip(SKIP_2) | instid1(VALU_DEP_2)
	v_cmp_gt_f64_e32 vcc_lo, v[24:25], v[0:1]
	v_dual_cndmask_b32 v1, v1, v25 :: v_dual_cndmask_b32 v0, v0, v24
	v_cndmask_b32_e64 v2, 1, 2, vcc_lo
	v_cmp_gt_f64_e64 s0, v[22:23], v[0:1]
	s_delay_alu instid0(VALU_DEP_1) | instskip(SKIP_1) | instid1(VALU_DEP_4)
	v_cndmask_b32_e64 v1, v1, v23, s0
	v_cndmask_b32_e64 v0, v0, v22, s0
	;; [unrolled: 1-line block ×3, first 2 shown]
	v_lshlrev_b64 v[2:3], 2, v[16:17]
	s_delay_alu instid0(VALU_DEP_3) | instskip(NEXT) | instid1(VALU_DEP_3)
	v_cmp_ngt_f64_e32 vcc_lo, v[20:21], v[0:1]
	v_cndmask_b32_e32 v4, 4, v4, vcc_lo
	s_delay_alu instid0(VALU_DEP_3) | instskip(NEXT) | instid1(VALU_DEP_4)
	v_add_co_u32 v0, vcc_lo, s30, v2
	v_add_co_ci_u32_e32 v1, vcc_lo, s31, v3, vcc_lo
	global_store_b32 v[0:1], v4, off
.LBB0_104:
	s_endpgm
	.section	.rodata,"a",@progbits
	.p2align	6, 0x0
	.amdhsa_kernel _Z6lookupPKiPKdS0_PiS0_S2_PK6WindowPK4Poleiiiiii
		.amdhsa_group_segment_fixed_size 65536
		.amdhsa_private_segment_fixed_size 80
		.amdhsa_kernarg_size 344
		.amdhsa_user_sgpr_count 15
		.amdhsa_user_sgpr_dispatch_ptr 1
		.amdhsa_user_sgpr_queue_ptr 0
		.amdhsa_user_sgpr_kernarg_segment_ptr 1
		.amdhsa_user_sgpr_dispatch_id 0
		.amdhsa_user_sgpr_private_segment_size 0
		.amdhsa_wavefront_size32 1
		.amdhsa_uses_dynamic_stack 0
		.amdhsa_enable_private_segment 1
		.amdhsa_system_sgpr_workgroup_id_x 1
		.amdhsa_system_sgpr_workgroup_id_y 0
		.amdhsa_system_sgpr_workgroup_id_z 0
		.amdhsa_system_sgpr_workgroup_info 0
		.amdhsa_system_vgpr_workitem_id 2
		.amdhsa_next_free_vgpr 107
		.amdhsa_next_free_sgpr 105
		.amdhsa_reserve_vcc 1
		.amdhsa_float_round_mode_32 0
		.amdhsa_float_round_mode_16_64 0
		.amdhsa_float_denorm_mode_32 3
		.amdhsa_float_denorm_mode_16_64 3
		.amdhsa_dx10_clamp 1
		.amdhsa_ieee_mode 1
		.amdhsa_fp16_overflow 0
		.amdhsa_workgroup_processor_mode 1
		.amdhsa_memory_ordered 1
		.amdhsa_forward_progress 0
		.amdhsa_shared_vgpr_count 0
		.amdhsa_exception_fp_ieee_invalid_op 0
		.amdhsa_exception_fp_denorm_src 0
		.amdhsa_exception_fp_ieee_div_zero 0
		.amdhsa_exception_fp_ieee_overflow 0
		.amdhsa_exception_fp_ieee_underflow 0
		.amdhsa_exception_fp_ieee_inexact 0
		.amdhsa_exception_int_div_zero 0
	.end_amdhsa_kernel
	.text
.Lfunc_end0:
	.size	_Z6lookupPKiPKdS0_PiS0_S2_PK6WindowPK4Poleiiiiii, .Lfunc_end0-_Z6lookupPKiPKdS0_PiS0_S2_PK6WindowPK4Poleiiiiii
                                        ; -- End function
	.section	.AMDGPU.csdata,"",@progbits
; Kernel info:
; codeLenInByte = 18528
; NumSgprs: 107
; NumVgprs: 107
; ScratchSize: 80
; MemoryBound: 1
; FloatMode: 240
; IeeeMode: 1
; LDSByteSize: 65536 bytes/workgroup (compile time only)
; SGPRBlocks: 13
; VGPRBlocks: 13
; NumSGPRsForWavesPerEU: 107
; NumVGPRsForWavesPerEU: 107
; Occupancy: 12
; WaveLimiterHint : 1
; COMPUTE_PGM_RSRC2:SCRATCH_EN: 1
; COMPUTE_PGM_RSRC2:USER_SGPR: 15
; COMPUTE_PGM_RSRC2:TRAP_HANDLER: 0
; COMPUTE_PGM_RSRC2:TGID_X_EN: 1
; COMPUTE_PGM_RSRC2:TGID_Y_EN: 0
; COMPUTE_PGM_RSRC2:TGID_Z_EN: 0
; COMPUTE_PGM_RSRC2:TIDIG_COMP_CNT: 2
	.text
	.p2alignl 7, 3214868480
	.fill 96, 4, 3214868480
	.type	__const._Z14fast_nuclear_W9RSComplex.an,@object ; @__const._Z14fast_nuclear_W9RSComplex.an
	.section	.rodata,"a",@progbits
	.p2align	4, 0x0
__const._Z14fast_nuclear_W9RSComplex.an:
	.quad	0x3fd1a75da77b03ac              ; double 0.27584019999999998
	.quad	0x3fccbed740c4156e              ; double 0.224574
	;; [unrolled: 1-line block ×9, first 2 shown]
	.quad	0x3f346e6a1e8a624d              ; double 3.1175700000000002E-4
	.size	__const._Z14fast_nuclear_W9RSComplex.an, 80

	.type	__const._Z14fast_nuclear_W9RSComplex.neg_1n,@object ; @__const._Z14fast_nuclear_W9RSComplex.neg_1n
	.p2align	4, 0x0
__const._Z14fast_nuclear_W9RSComplex.neg_1n:
	.quad	0xbff0000000000000              ; double -1
	.quad	0x3ff0000000000000              ; double 1
	.quad	0xbff0000000000000              ; double -1
	.quad	0x3ff0000000000000              ; double 1
	;; [unrolled: 2-line block ×5, first 2 shown]
	.size	__const._Z14fast_nuclear_W9RSComplex.neg_1n, 80

	.type	__const._Z14fast_nuclear_W9RSComplex.denominator_left,@object ; @__const._Z14fast_nuclear_W9RSComplex.denominator_left
	.p2align	4, 0x0
__const._Z14fast_nuclear_W9RSComplex.denominator_left:
	.quad	0x4023bd3cbc48f10b              ; double 9.8696040000000007
	.quad	0x4043bd3cddd6e04c              ; double 39.47842
	;; [unrolled: 1-line block ×10, first 2 shown]
	.size	__const._Z14fast_nuclear_W9RSComplex.denominator_left, 80

	.type	__hip_cuid_72f92bac002798c6,@object ; @__hip_cuid_72f92bac002798c6
	.section	.bss,"aw",@nobits
	.globl	__hip_cuid_72f92bac002798c6
__hip_cuid_72f92bac002798c6:
	.byte	0                               ; 0x0
	.size	__hip_cuid_72f92bac002798c6, 1

	.ident	"AMD clang version 19.0.0git (https://github.com/RadeonOpenCompute/llvm-project roc-6.4.0 25133 c7fe45cf4b819c5991fe208aaa96edf142730f1d)"
	.section	".note.GNU-stack","",@progbits
	.addrsig
	.addrsig_sym __hip_cuid_72f92bac002798c6
	.amdgpu_metadata
---
amdhsa.kernels:
  - .args:
      - .actual_access:  read_only
        .address_space:  global
        .offset:         0
        .size:           8
        .value_kind:     global_buffer
      - .actual_access:  read_only
        .address_space:  global
        .offset:         8
        .size:           8
        .value_kind:     global_buffer
      - .actual_access:  read_only
        .address_space:  global
        .offset:         16
        .size:           8
        .value_kind:     global_buffer
      - .actual_access:  write_only
        .address_space:  global
        .offset:         24
        .size:           8
        .value_kind:     global_buffer
      - .actual_access:  read_only
        .address_space:  global
        .offset:         32
        .size:           8
        .value_kind:     global_buffer
      - .actual_access:  read_only
        .address_space:  global
        .offset:         40
        .size:           8
        .value_kind:     global_buffer
      - .actual_access:  read_only
        .address_space:  global
        .offset:         48
        .size:           8
        .value_kind:     global_buffer
      - .actual_access:  read_only
        .address_space:  global
        .offset:         56
        .size:           8
        .value_kind:     global_buffer
      - .offset:         64
        .size:           4
        .value_kind:     by_value
      - .offset:         68
        .size:           4
        .value_kind:     by_value
      - .offset:         72
        .size:           4
        .value_kind:     by_value
      - .offset:         76
        .size:           4
        .value_kind:     by_value
      - .offset:         80
        .size:           4
        .value_kind:     by_value
      - .offset:         84
        .size:           4
        .value_kind:     by_value
      - .offset:         88
        .size:           4
        .value_kind:     hidden_block_count_x
      - .offset:         92
        .size:           4
        .value_kind:     hidden_block_count_y
      - .offset:         96
        .size:           4
        .value_kind:     hidden_block_count_z
      - .offset:         100
        .size:           2
        .value_kind:     hidden_group_size_x
      - .offset:         102
        .size:           2
        .value_kind:     hidden_group_size_y
      - .offset:         104
        .size:           2
        .value_kind:     hidden_group_size_z
      - .offset:         106
        .size:           2
        .value_kind:     hidden_remainder_x
      - .offset:         108
        .size:           2
        .value_kind:     hidden_remainder_y
      - .offset:         110
        .size:           2
        .value_kind:     hidden_remainder_z
      - .offset:         128
        .size:           8
        .value_kind:     hidden_global_offset_x
      - .offset:         136
        .size:           8
        .value_kind:     hidden_global_offset_y
      - .offset:         144
        .size:           8
        .value_kind:     hidden_global_offset_z
      - .offset:         152
        .size:           2
        .value_kind:     hidden_grid_dims
    .group_segment_fixed_size: 65536
    .kernarg_segment_align: 8
    .kernarg_segment_size: 344
    .language:       OpenCL C
    .language_version:
      - 2
      - 0
    .max_flat_workgroup_size: 1024
    .name:           _Z6lookupPKiPKdS0_PiS0_S2_PK6WindowPK4Poleiiiiii
    .private_segment_fixed_size: 80
    .sgpr_count:     107
    .sgpr_spill_count: 23
    .symbol:         _Z6lookupPKiPKdS0_PiS0_S2_PK6WindowPK4Poleiiiiii.kd
    .uniform_work_group_size: 1
    .uses_dynamic_stack: false
    .vgpr_count:     107
    .vgpr_spill_count: 0
    .wavefront_size: 32
    .workgroup_processor_mode: 1
amdhsa.target:   amdgcn-amd-amdhsa--gfx1100
amdhsa.version:
  - 1
  - 2
...

	.end_amdgpu_metadata
